;; amdgpu-corpus repo=ROCm/aiter kind=harvested arch=n/a opt=n/a

/root/src/amdgpu-assembly/repos/ROCm__aiter/hsa/gfx950/mla/mla_a8w8_qh16_qseqlen4_gqaratio16_ps.co:	file format elf64-amdgpu

Disassembly of section .text:

0000000000002400 <_ZN5aiter36mla_a8w8_qh16_qseqlen4_gqaratio16_psE>:
	s_and_b32 s1, s1, 0xffff                                   // 000000002400: 8601FF01 0000FFFF
	s_load_dwordx2 s[28:29], s[0:1], 0xe0                      // 000000002408: C0060700 000000E0
	v_lshrrev_b32_e32 v1, 10, v0                               // 000000002410: 2002008A
	v_lshrrev_b32_e32 v2, 10, v1                               // 000000002414: 2004028A
	v_and_b32_e32 v2, 0x3ff, v2                                // 000000002418: 260404FF 000003FF
	v_and_b32_e32 v1, 0x3ff, v1                                // 000000002420: 260202FF 000003FF
	v_and_b32_e32 v0, 0x3ff, v0                                // 000000002428: 260000FF 000003FF
	v_lshrrev_b32_e32 v3, 6, v0                                // 000000002430: 20060086
	v_and_b32_e32 v0, 63, v0                                   // 000000002434: 260000BF
	s_mov_b32 s2, s2                                           // 000000002438: BE820002
	s_mov_b32 s3, s3                                           // 00000000243C: BE830003
	s_mov_b32 s4, s4                                           // 000000002440: BE840004
	v_readfirstlane_b32 s7, v3                                 // 000000002444: 7E0E0503
	s_waitcnt lgkmcnt(0)                                       // 000000002448: BF8CC07F
	s_and_b32 s29, s29, 0xffff                                 // 00000000244C: 861DFF1D 0000FFFF
	s_load_dwordx2 s[32:33], s[28:29], 0x0                     // 000000002454: C006080E 00000000
	s_load_dwordx2 s[30:31], s[28:29], 0x8                     // 00000000245C: C006078E 00000008
	s_waitcnt lgkmcnt(0)                                       // 000000002464: BF8CC07F
	s_mul_i32 s56, s2, 4                                       // 000000002468: 92388402
	s_and_b32 s33, s33, 0xffff                                 // 00000000246C: 8621FF21 0000FFFF
	s_add_u32 s32, s56, s32                                    // 000000002474: 80202038
	s_addc_u32 s33, 0, s33                                     // 000000002478: 82212180
	s_load_dword s85, s[32:33], 0x0                            // 00000000247C: C0021550 00000000
	s_load_dword s86, s[32:33], 0x4                            // 000000002484: C0021590 00000004
	s_and_b32 s31, s31, 0xffff                                 // 00000000248C: 861FFF1F 0000FFFF
	s_waitcnt lgkmcnt(0)                                       // 000000002494: BF8CC07F
	s_cmp_eq_i32 s85, s86                                      // 000000002498: BF005655
	s_cbranch_scc1 label_8760                                  // 00000000249C: BF85212E
	s_mul_i32 s56, s85, 32                                     // 0000000024A0: 9238A055

00000000000024a4 <label_00A4>:
	s_waitcnt vmcnt(0) expcnt(0) lgkmcnt(0)                    // 0000000024A4: BF8C0000
	s_barrier                                                  // 0000000024A8: BF8A0000
	s_add_u32 s30, s56, s30                                    // 0000000024AC: 801E1E38
	s_addc_u32 s31, 0, s31                                     // 0000000024B0: 821F1F80
	s_load_dword s87, s[30:31], 0x4                            // 0000000024B4: C00215CF 00000004
	s_load_dword s78, s[30:31], 0x8                            // 0000000024BC: C002138F 00000008
	s_load_dword s79, s[30:31], 0xc                            // 0000000024C4: C00213CF 0000000C
	s_load_dword s47, s[30:31], 0x10                           // 0000000024CC: C0020BCF 00000010
	s_load_dword s46, s[30:31], 0x14                           // 0000000024D4: C0020B8F 00000014
	s_load_dword s77, s[30:31], 0x18                           // 0000000024DC: C002134F 00000018
	s_load_dwordx2 s[8:9], s[0:1], 0x0                         // 0000000024E4: C0060200 00000000
	s_load_dwordx2 s[12:13], s[0:1], 0x10                      // 0000000024EC: C0060300 00000010
	s_load_dwordx2 s[16:17], s[0:1], 0x20                      // 0000000024F4: C0060400 00000020
	s_load_dwordx2 s[20:21], s[0:1], 0x30                      // 0000000024FC: C0060500 00000030
	s_load_dwordx2 s[24:25], s[0:1], 0x50                      // 000000002504: C0060600 00000050
	s_load_dword s64, s[0:1], 0x70                             // 00000000250C: C0021000 00000070
	s_load_dword s65, s[0:1], 0x80                             // 000000002514: C0021040 00000080
	s_load_dword s67, s[0:1], 0x90                             // 00000000251C: C00210C0 00000090
	s_load_dword s66, s[0:1], 0xa0                             // 000000002524: C0021080 000000A0
	s_load_dword s68, s[0:1], 0xb0                             // 00000000252C: C0021100 000000B0
	s_load_dword s69, s[0:1], 0xc0                             // 000000002534: C0021140 000000C0
	s_load_dwordx2 s[88:89], s[0:1], 0xf0                      // 00000000253C: C0061600 000000F0
	s_load_dwordx2 s[40:41], s[0:1], 0x100                     // 000000002544: C0060A00 00000100
	s_load_dwordx2 s[42:43], s[0:1], 0x110                     // 00000000254C: C0060A80 00000110
	s_waitcnt lgkmcnt(0)                                       // 000000002554: BF8CC07F
	s_min_u32 s76, 16, s65                                     // 000000002558: 83CC4190
	s_sub_u32 s81, s79, s78                                    // 00000000255C: 80D14E4F
	s_mul_i32 s74, 0x240, s65                                  // 000000002560: 924A41FF 00000240
	s_mul_i32 s56, 4, s65                                      // 000000002568: 92384184
	s_mov_b32 s10, s75                                         // 00000000256C: BE8A004B
	s_mov_b32 s18, s74                                         // 000000002570: BE92004A
	s_mov_b32 s14, s56                                         // 000000002574: BE8E0038
	s_mov_b32 s22, -16                                         // 000000002578: BE9600D0
	s_mov_b32 s26, -16                                         // 00000000257C: BE9A00D0
	s_mov_b32 s11, 0x20000                                     // 000000002580: BE8B00FF 00020000
	s_mov_b32 s91, 0x20000                                     // 000000002588: BEDB00FF 00020000
	s_mov_b32 s19, 0x20000                                     // 000000002590: BE9300FF 00020000
	s_mov_b32 s15, 0x20000                                     // 000000002598: BE8F00FF 00020000
	s_mov_b32 s23, 0x20000                                     // 0000000025A0: BE9700FF 00020000
	s_mov_b32 s27, 0x20000                                     // 0000000025A8: BE9B00FF 00020000
	s_and_b32 s9, s9, 0xffff                                   // 0000000025B0: 8609FF09 0000FFFF
	s_and_b32 s89, s89, 0xffff                                 // 0000000025B8: 8659FF59 0000FFFF
	s_and_b32 s17, s17, 0xffff                                 // 0000000025C0: 8611FF11 0000FFFF
	s_and_b32 s13, s13, 0xffff                                 // 0000000025C8: 860DFF0D 0000FFFF
	s_and_b32 s21, s21, 0xffff                                 // 0000000025D0: 8615FF15 0000FFFF
	s_and_b32 s25, s25, 0xffff                                 // 0000000025D8: 8619FF19 0000FFFF
	s_and_b32 s41, s41, 0xffff                                 // 0000000025E0: 8629FF29 0000FFFF
	s_and_b32 s43, s43, 0xffff                                 // 0000000025E8: 862BFF2B 0000FFFF
	s_or_b32 s9, s9, 0x40000                                   // 0000000025F0: 8709FF09 00040000
	s_or_b32 s89, s89, 0x40000                                 // 0000000025F8: 8759FF59 00040000
	s_or_b32 s17, s17, 0x40000                                 // 000000002600: 8711FF11 00040000
	s_or_b32 s13, s13, 0x40000                                 // 000000002608: 870DFF0D 00040000
	s_or_b32 s21, s21, 0x40000                                 // 000000002610: 8715FF15 00040000
	s_or_b32 s25, s25, 0x40000                                 // 000000002618: 8719FF19 00040000
	s_mov_b32 s67, 1                                           // 000000002620: BEC30081
	s_mov_b32 s80, 0                                           // 000000002624: BED00080
	s_waitcnt lgkmcnt(0)                                       // 000000002628: BF8CC07F
	s_load_dword s60, s[40:41], 0x0                            // 00000000262C: C0020F14 00000000
	s_load_dword s61, s[42:43], 0x0                            // 000000002634: C0020F55 00000000
	s_mov_b32 s69, 0                                           // 00000000263C: BEC50080
	s_lshr_b32 s44, 64, s69                                    // 000000002640: 8F2C45C0
	s_mul_i32 s73, s44, 4                                      // 000000002644: 9249842C
	s_mul_i32 s73, s73, s67                                    // 000000002648: 92494349
	s_mul_i32 s45, s4, s44                                     // 00000000264C: 922D2C04
	s_sub_u32 s50, s46, s47                                    // 000000002650: 80B22F2E
	s_sub_i32 s82, s50, s81                                    // 000000002654: 81D25132
	s_mov_b32 s83, 63                                          // 000000002658: BED300BF
	s_add_u32 s83, s83, s45                                    // 00000000265C: 80532D53
	s_mov_b32 s56, s77                                         // 000000002660: BEB8004D
	s_add_u32 s82, s56, s82                                    // 000000002664: 80525238
	s_mul_i32 s84, s67, 64                                     // 000000002668: 9254C043
	s_cmp_le_u32 s50, s45                                      // 00000000266C: BF0B2D32
	s_cbranch_scc1 label_8760                                  // 000000002670: BF8520B9
	s_mul_i32 s56, s50, 4                                      // 000000002674: 92388432
	s_mov_b32 s26, s56                                         // 000000002678: BE9A0038
	s_mul_i32 s56, s47, 4                                      // 00000000267C: 9238842F
	s_add_u32 s24, s56, s24                                    // 000000002680: 80181838
	s_addc_u32 s25, 0, s25                                     // 000000002684: 82191980
	s_mov_b32 s70, 0                                           // 000000002688: BEC60080
	s_sub_u32 s71, s50, s45                                    // 00000000268C: 80C72D32
	s_mul_i32 s37, s67, s44                                    // 000000002690: 92252C43
	s_mov_b32 s36, s71                                         // 000000002694: BEA40047
	v_cvt_f32_u32_e32 v27, s37                                 // 000000002698: 7E360C25
	s_sub_i32 s56, 0, s37                                      // 00000000269C: 81B82580
	v_rcp_iflag_f32_e32 v27, v27                               // 0000000026A0: 7E36471B
	s_nop 0                                                    // 0000000026A4: BF800000
	v_mul_f32_e32 v27, 0x4f7ffffe, v27                         // 0000000026A8: 0A3636FF 4F7FFFFE
	v_cvt_u32_f32_e32 v27, v27                                 // 0000000026B0: 7E360F1B
	v_mul_lo_u32 v28, s56, v27                                 // 0000000026B4: D285001C 00023638
	v_mul_hi_u32 v28, v27, v28                                 // 0000000026BC: D286001C 0002391B
	v_add_u32_e32 v27, v27, v28                                // 0000000026C4: 6836391B
	v_mul_hi_u32 v27, s36, v27                                 // 0000000026C8: D286001B 00023624
	v_mul_lo_u32 v28, v27, s37                                 // 0000000026D0: D285001C 00004B1B
	v_sub_u32_e32 v30, s36, v28                                // 0000000026D8: 6A3C3824
	v_add_u32_e32 v29, 1, v27                                  // 0000000026DC: 683A3681
	v_cmp_le_u32_e32 vcc, s37, v30                             // 0000000026E0: 7D963C25
	v_subrev_u32_e32 v28, s37, v30                             // 0000000026E4: 6C383C25
	s_nop 0                                                    // 0000000026E8: BF800000
	v_cndmask_b32_e32 v27, v27, v29, vcc                       // 0000000026EC: 00363B1B
	v_cndmask_b32_e32 v30, v30, v28, vcc                       // 0000000026F0: 003C391E
	v_add_u32_e32 v28, 1, v27                                  // 0000000026F4: 68383681
	v_cmp_le_u32_e32 vcc, s37, v30                             // 0000000026F8: 7D963C25
	s_nop 1                                                    // 0000000026FC: BF800001
	v_cndmask_b32_e32 v30, v27, v28, vcc                       // 000000002700: 003C391B
	s_nop 3                                                    // 000000002704: BF800003
	v_readfirstlane_b32 s38, v30                               // 000000002708: 7E4C051E
	s_nop 3                                                    // 00000000270C: BF800003
	s_mov_b32 s71, s38                                         // 000000002710: BEC70026
	s_mul_i32 s56, s71, s37                                    // 000000002714: 92382547
	s_sub_u32 s56, s36, s56                                    // 000000002718: 80B83824
	s_mov_b32 s57, 0                                           // 00000000271C: BEB90080
	s_cmp_lt_u32 s56, s44                                      // 000000002720: BF0A2C38
	s_cselect_b32 s57, s57, 1                                  // 000000002724: 85398139
	s_add_u32 s71, s57, s71                                    // 000000002728: 80474739
	s_cmpk_eq_u32 s57, 0x1                                     // 00000000272C: B4390001
	s_cselect_b32 s49, 0, s56                                  // 000000002730: 85313880
	s_mov_b32 s48, s49                                         // 000000002734: BEB00031
	v_lshrrev_b32_e32 v27, 2, v0                               // 000000002738: 20360082
	s_mul_i32 s56, s7, 16                                      // 00000000273C: 92389007
	v_add_u32_e64 v26, v27, s56                                // 000000002740: D134001A 0000711B
	v_add_u32_e32 v26, s45, v26                                // 000000002748: 6834342D
	v_lshlrev_b32_e32 v26, 2, v26                              // 00000000274C: 24343482
	buffer_load_dword v23, v26, s[24:27], 0 offen              // 000000002750: E0501000 8006171A
	v_add_u32_e32 v26, s73, v26                                // 000000002758: 68343449
	buffer_load_dword v24, v26, s[24:27], 0 offen              // 00000000275C: E0501000 8006181A
	v_add_u32_e32 v26, s73, v26                                // 000000002764: 68343449
	s_mul_i32 s56, 0x240, 16                                   // 000000002768: 923890FF 00000240
	s_mul_i32 s56, s78, s56                                    // 000000002770: 9238384E
	s_add_u32 s16, s56, s16                                    // 000000002774: 80101038
	s_addc_u32 s17, 0, s17                                     // 000000002778: 82111180
	s_mul_i32 s56, s7, 0x400                                   // 00000000277C: 9238FF07 00000400
	s_add_u32 m0, 0, s56                                       // 000000002784: 807C3880
	v_and_b32_e32 v27, 3, v0                                   // 000000002788: 26360083
	v_mov_b32_e32 v28, 0                                       // 00000000278C: 7E380280
	s_mov_b32 s56, 0                                           // 000000002790: BEB80080
	s_mov_b32 s57, -1                                          // 000000002794: BEB900C1
	v_cndmask_b32_e64 v29, v28, v27, s[56:57]                  // 000000002798: D100001D 00E2371C
	s_nop 2                                                    // 0000000027A0: BF800002
	v_mov_b32_dpp v29, v29 quad_perm:[2,3,0,1] row_mask:0xf bank_mask:0xf// 0000000027A4: 7E3A02FA FF004E1D
	v_cndmask_b32_e64 v30, v27, v29, s[56:57]                  // 0000000027AC: D100001E 00E23B1B
	v_lshlrev_b32_e32 v30, 4, v30                              // 0000000027B4: 243C3C84
	v_mov_b32_e32 v1, v30                                      // 0000000027B8: 7E02031E
	v_lshrrev_b32_e32 v27, 2, v0                               // 0000000027BC: 20360082
	s_mov_b32 s56, 0x240                                       // 0000000027C0: BEB800FF 00000240
	v_mul_i32_i24_e64 v27, v27, s56                            // 0000000027C8: D106001B 0000711B
	s_mul_i32 s56, s7, 64                                      // 0000000027D0: 9238C007
	v_add_u32_e32 v28, v27, v30                                // 0000000027D4: 68383D1B
	v_add_u32_e64 v28, v28, s56                                // 0000000027D8: D134001C 0000711C
	buffer_load_dwordx4 v28, s[16:19], 0 offen lds             // 0000000027E0: E05D1000 8004001C
	s_add_u32 m0, m0, 0x1000                                   // 0000000027E8: 807CFF7C 00001000
	v_add_u32_e32 v28, 0x100, v28                              // 0000000027F0: 683838FF 00000100
	buffer_load_dwordx4 v28, s[16:19], 0 offen lds             // 0000000027F8: E05D1000 8004001C
	s_add_u32 m0, m0, 0x1000                                   // 000000002800: 807CFF7C 00001000
	v_add_u32_e32 v28, 0x100, v28                              // 000000002808: 683838FF 00000100
	buffer_load_dwordx4 v28, s[16:19], 0 offen lds             // 000000002810: E05D1000 8004001C
	s_add_u32 m0, m0, 0x1000                                   // 000000002818: 807CFF7C 00001000
	v_add_u32_e32 v28, 0x100, v28                              // 000000002820: 683838FF 00000100
	v_add_u32_e32 v28, 0x2100, v28                             // 000000002828: 683838FF 00002100
	buffer_load_dwordx4 v28, s[16:19], 0 offen lds             // 000000002830: E05D1000 8004001C
	s_add_u32 m0, m0, 0x1000                                   // 000000002838: 807CFF7C 00001000
	v_add_u32_e32 v28, 0x100, v28                              // 000000002840: 683838FF 00000100
	buffer_load_dwordx4 v28, s[16:19], 0 offen lds             // 000000002848: E05D1000 8004001C
	s_add_u32 m0, m0, 0x1000                                   // 000000002850: 807CFF7C 00001000
	v_add_u32_e32 v28, 0x100, v28                              // 000000002858: 683838FF 00000100
	;; [unrolled: 3-line block ×3, first 2 shown]
	v_add_u32_e32 v28, 0x2100, v28                             // 000000002878: 683838FF 00002100
	buffer_load_dwordx4 v28, s[16:19], 0 offen lds             // 000000002880: E05D1000 8004001C
	s_add_u32 m0, m0, 0x1000                                   // 000000002888: 807CFF7C 00001000
	v_add_u32_e32 v28, 0x100, v28                              // 000000002890: 683838FF 00000100
	buffer_load_dwordx4 v28, s[16:19], 0 offen lds             // 000000002898: E05D1000 8004001C
	s_add_u32 m0, m0, 0x1000                                   // 0000000028A0: 807CFF7C 00001000
	v_add_u32_e32 v28, 0x100, v28                              // 0000000028A8: 683838FF 00000100
	buffer_load_dwordx4 v28, s[16:19], 0 offen lds             // 0000000028B0: E05D1000 8004001C
	s_add_u32 m0, m0, 0x1000                                   // 0000000028B8: 807CFF7C 00001000
	v_add_u32_e32 v28, 0x100, v28                              // 0000000028C0: 683838FF 00000100
	v_add_u32_e32 v28, 0x2100, v28                             // 0000000028C8: 683838FF 00002100
	buffer_load_dwordx4 v28, s[16:19], 0 offen lds             // 0000000028D0: E05D1000 8004001C
	s_add_u32 m0, m0, 0x1000                                   // 0000000028D8: 807CFF7C 00001000
	v_add_u32_e32 v28, 0x100, v28                              // 0000000028E0: 683838FF 00000100
	buffer_load_dwordx4 v28, s[16:19], 0 offen lds             // 0000000028E8: E05D1000 8004001C
	s_add_u32 m0, m0, 0x1000                                   // 0000000028F0: 807CFF7C 00001000
	v_add_u32_e32 v28, 0x100, v28                              // 0000000028F8: 683838FF 00000100
	buffer_load_dwordx4 v28, s[16:19], 0 offen lds             // 000000002900: E05D1000 8004001C
	s_add_u32 m0, m0, 0x1000                                   // 000000002908: 807CFF7C 00001000
	v_add_u32_e32 v28, 0x100, v28                              // 000000002910: 683838FF 00000100
	v_add_u32_e32 v28, 0x2100, v28                             // 000000002918: 683838FF 00002100
	s_mov_b32 s52, 0x7060302                                   // 000000002920: BEB400FF 07060302
	s_mov_b32 s53, 0x7060302                                   // 000000002928: BEB500FF 07060302
	s_mov_b32 s54, 0x5040100                                   // 000000002930: BEB600FF 05040100
	v_mov_b32_e32 v53, 0xffff0000                              // 000000002938: 7E6A02FF FFFF0000
	v_mov_b32_e32 v54, 0x7fff0000                              // 000000002940: 7E6C02FF 7FFF0000
	v_mov_b32_e32 v55, 0x7fff                                  // 000000002948: 7E6E02FF 00007FFF
	s_mul_i32 s51, s7, 4                                       // 000000002950: 92338407
	s_mov_b32 s6, 0x3fb8aa3b                                   // 000000002954: BE8600FF 3FB8AA3B
	v_mov_b32_e32 v28, s6                                      // 00000000295C: 7E380206
	v_mov_b32_e32 v27, s64                                     // 000000002960: 7E360240
	v_mul_f32_e32 v27, s6, v27                                 // 000000002964: 0A363606
	v_rcp_f32_e32 v28, v28                                     // 000000002968: 7E38451C
	v_mov_b32_e32 v2, 0xff800000                               // 00000000296C: 7E0402FF FF800000
	v_mov_b32_e32 v18, 0                                       // 000000002974: 7E240280
	v_mov_b32_e32 v4, 0                                        // 000000002978: 7E080280
	v_readfirstlane_b32 s5, v27                                // 00000000297C: 7E0A051B
	v_readfirstlane_b32 s63, v28                               // 000000002980: 7E7E051C
	s_waitcnt lgkmcnt(0)                                       // 000000002984: BF8CC07F
	v_mov_b32_e32 v27, s60                                     // 000000002988: 7E36023C
	v_mul_f32_e32 v27, s61, v27                                // 00000000298C: 0A36363D
	v_mul_f32_e32 v28, s5, v27                                 // 000000002990: 0A383605
	v_mul_f32_e32 v30, s64, v27                                // 000000002994: 0A3C3640
	v_readfirstlane_b32 s5, v28                                // 000000002998: 7E0A051C
	v_readfirstlane_b32 s64, v30                               // 00000000299C: 7E80051E
	v_accvgpr_write_b32 a36, 0                                 // 0000000029A0: D3D94024 18000080
	v_accvgpr_write_b32 a37, 0                                 // 0000000029A8: D3D94025 18000080
	v_accvgpr_write_b32 a38, 0                                 // 0000000029B0: D3D94026 18000080
	v_accvgpr_write_b32 a39, 0                                 // 0000000029B8: D3D94027 18000080
	v_accvgpr_write_b32 a76, 0                                 // 0000000029C0: D3D9404C 18000080
	v_accvgpr_write_b32 a77, 0                                 // 0000000029C8: D3D9404D 18000080
	v_accvgpr_write_b32 a78, 0                                 // 0000000029D0: D3D9404E 18000080
	v_accvgpr_write_b32 a79, 0                                 // 0000000029D8: D3D9404F 18000080
	v_accvgpr_write_b32 a116, 0                                // 0000000029E0: D3D94074 18000080
	v_accvgpr_write_b32 a117, 0                                // 0000000029E8: D3D94075 18000080
	v_accvgpr_write_b32 a118, 0                                // 0000000029F0: D3D94076 18000080
	v_accvgpr_write_b32 a119, 0                                // 0000000029F8: D3D94077 18000080
	v_lshlrev_b32_e32 v32, 4, v0                               // 000000002A00: 24400084
	s_mov_b32 s56, 0x400                                       // 000000002A04: BEB800FF 00000400
	s_mul_i32 s56, s56, s7                                     // 000000002A0C: 92380738
	v_add_u32_e32 v32, s56, v32                                // 000000002A10: 68404038
	s_lshr_b32 s56, s7, 1                                      // 000000002A14: 8F388107
	s_mul_i32 s56, s56, 0x800                                  // 000000002A18: 9238FF38 00000800
	v_lshlrev_b32_e32 v33, 4, v0                               // 000000002A20: 24420084
	v_add_u32_e32 v33, s56, v33                                // 000000002A24: 68424238
	v_and_b32_e32 v27, 15, v0                                  // 000000002A28: 2636008F
	v_lshlrev_b32_e32 v34, 2, v27                              // 000000002A2C: 24443682
	s_mul_i32 s56, 64, s7                                      // 000000002A30: 923807C0
	v_add_u32_e32 v34, s56, v34                                // 000000002A34: 68444438
	v_and_b32_e32 v27, 31, v0                                  // 000000002A38: 2636009F
	v_lshlrev_b32_e32 v35, 2, v27                              // 000000002A3C: 24463682
	s_lshr_b32 s56, s7, 1                                      // 000000002A40: 8F388107
	s_mul_i32 s56, 0x80, s56                                   // 000000002A44: 923838FF 00000080
	v_add_u32_e32 v35, s56, v35                                // 000000002A4C: 68464638
	s_waitcnt vmcnt(12)                                        // 000000002A50: BF8C0F7C
	v_mul_u32_u24_e64 v30, v23, s68                            // 000000002A54: D108001E 00008917
	v_add_u32_e32 v30, v30, v1                                 // 000000002A5C: 683C031E
	s_mov_b32 s56, 0x14000                                     // 000000002A60: BEB800FF 00014000
	s_mul_i32 s57, s7, 0x2400                                  // 000000002A68: 9239FF07 00002400
	s_add_u32 m0, s56, s57                                     // 000000002A70: 807C3938
	buffer_load_dwordx4 v30, s[20:23], 0 offen lds             // 000000002A74: E05D1000 8005001E
	s_add_i32 m0, m0, 0x3c0                                    // 000000002A7C: 817CFF7C 000003C0
	buffer_load_dwordx4 v30, s[20:23], 0 offen offset:64 lds   // 000000002A84: E05D1040 8005001E
	s_add_i32 m0, m0, 0x3c0                                    // 000000002A8C: 817CFF7C 000003C0
	buffer_load_dwordx4 v30, s[20:23], 0 offen offset:128 lds  // 000000002A94: E05D1080 8005001E
	s_add_i32 m0, m0, 0x3c0                                    // 000000002A9C: 817CFF7C 000003C0
	buffer_load_dwordx4 v30, s[20:23], 0 offen offset:192 lds  // 000000002AA4: E05D10C0 8005001E
	s_add_i32 m0, m0, 0x3c0                                    // 000000002AAC: 817CFF7C 000003C0
	buffer_load_dwordx4 v30, s[20:23], 0 offen offset:256 lds  // 000000002AB4: E05D1100 8005001E
	s_add_i32 m0, m0, 0x3c0                                    // 000000002ABC: 817CFF7C 000003C0
	buffer_load_dwordx4 v30, s[20:23], 0 offen offset:320 lds  // 000000002AC4: E05D1140 8005001E
	s_add_i32 m0, m0, 0x3c0                                    // 000000002ACC: 817CFF7C 000003C0
	buffer_load_dwordx4 v30, s[20:23], 0 offen offset:384 lds  // 000000002AD4: E05D1180 8005001E
	s_add_i32 m0, m0, 0x3c0                                    // 000000002ADC: 817CFF7C 000003C0
	buffer_load_dwordx4 v30, s[20:23], 0 offen offset:448 lds  // 000000002AE4: E05D11C0 8005001E
	s_add_i32 m0, m0, 0x3c0                                    // 000000002AEC: 817CFF7C 000003C0
	buffer_load_dwordx4 v30, s[20:23], 0 offen offset:512 lds  // 000000002AF4: E05D1200 8005001E
	s_add_i32 m0, m0, 0x3c0                                    // 000000002AFC: 817CFF7C 000003C0
	buffer_load_dword v25, v26, s[24:27], 0 offen              // 000000002B04: E0501000 8006191A
	v_add_u32_e32 v26, s73, v26                                // 000000002B0C: 68343449
	v_lshrrev_b32_e32 v27, 4, v0                               // 000000002B10: 20360084
	v_lshlrev_b32_e32 v27, 2, v27                              // 000000002B14: 24363682
	v_sub_u32_e32 v28, 12, v27                                 // 000000002B18: 6A38368C
	v_mov_b32_e32 v29, v28                                     // 000000002B1C: 7E3A031C
	s_nop 1                                                    // 000000002B20: BF800001
	v_permlane16_swap_b32_e32 v28, v29                         // 000000002B24: 7E38B31D
	s_nop 1                                                    // 000000002B28: BF800001
	v_permlane16_swap_b32_e32 v29, v28                         // 000000002B2C: 7E3AB31C
	s_mov_b32 s56, 0xff00ff00                                  // 000000002B30: BEB800FF FF00FF00
	s_mov_b32 s57, 0xff00ff00                                  // 000000002B38: BEB900FF FF00FF00
	v_cndmask_b32_e64 v29, v27, v28, s[56:57]                  // 000000002B40: D100001D 00E2391B
	v_and_b32_e32 v27, 15, v0                                  // 000000002B48: 2636008F
	v_lshlrev_b32_e32 v27, 4, v27                              // 000000002B4C: 24363684
	v_add_u32_e32 v4, v27, v29                                 // 000000002B50: 68083B1B
	v_lshlrev_b32_e32 v4, 2, v4                                // 000000002B54: 24080882
	s_mul_i32 s56, s7, 0x3000                                  // 000000002B58: 9238FF07 00003000
	v_add_u32_e32 v4, s56, v4                                  // 000000002B60: 68080838
	s_waitcnt vmcnt(10)                                        // 000000002B64: BF8C0F7A
	s_barrier                                                  // 000000002B68: BF8A0000
	ds_read_b128 a[0:3], v4                                    // 000000002B6C: DBFE0000 00000004
	ds_read_b128 a[4:7], v4 offset:1024                        // 000000002B74: DBFE0400 04000004
	ds_read_b128 a[8:11], v4 offset:2048                       // 000000002B7C: DBFE0800 08000004
	ds_read_b128 a[12:15], v4 offset:3072                      // 000000002B84: DBFE0C00 0C000004
	ds_read_b128 a[16:19], v4 offset:4096                      // 000000002B8C: DBFE1000 10000004
	ds_read_b128 a[20:23], v4 offset:5120                      // 000000002B94: DBFE1400 14000004
	ds_read_b128 a[24:27], v4 offset:6144                      // 000000002B9C: DBFE1800 18000004
	ds_read_b128 a[28:31], v4 offset:7168                      // 000000002BA4: DBFE1C00 1C000004
	ds_read_b128 a[32:35], v4 offset:8192                      // 000000002BAC: DBFE2000 20000004
	v_mov_b32_e32 v56, 0                                       // 000000002BB4: 7E700280
	v_mov_b32_e32 v57, 0                                       // 000000002BB8: 7E720280
	v_mov_b32_e32 v58, 0                                       // 000000002BBC: 7E740280
	v_mov_b32_e32 v59, 0                                       // 000000002BC0: 7E760280
	v_mov_b32_e32 v60, 0                                       // 000000002BC4: 7E780280
	v_mov_b32_e32 v61, 0                                       // 000000002BC8: 7E7A0280
	v_mov_b32_e32 v62, 0                                       // 000000002BCC: 7E7C0280
	v_mov_b32_e32 v63, 0                                       // 000000002BD0: 7E7E0280
	v_mov_b32_e32 v64, 0                                       // 000000002BD4: 7E800280
	v_mov_b32_e32 v65, 0                                       // 000000002BD8: 7E820280
	v_mov_b32_e32 v66, 0                                       // 000000002BDC: 7E840280
	v_mov_b32_e32 v67, 0                                       // 000000002BE0: 7E860280
	v_mov_b32_e32 v68, 0                                       // 000000002BE4: 7E880280
	v_mov_b32_e32 v69, 0                                       // 000000002BE8: 7E8A0280
	v_mov_b32_e32 v70, 0                                       // 000000002BEC: 7E8C0280
	v_mov_b32_e32 v71, 0                                       // 000000002BF0: 7E8E0280
	v_mov_b32_e32 v72, 0                                       // 000000002BF4: 7E900280
	v_mov_b32_e32 v73, 0                                       // 000000002BF8: 7E920280
	v_mov_b32_e32 v74, 0                                       // 000000002BFC: 7E940280
	v_mov_b32_e32 v75, 0                                       // 000000002C00: 7E960280
	v_mov_b32_e32 v76, 0                                       // 000000002C04: 7E980280
	v_mov_b32_e32 v77, 0                                       // 000000002C08: 7E9A0280
	v_mov_b32_e32 v78, 0                                       // 000000002C0C: 7E9C0280
	v_mov_b32_e32 v79, 0                                       // 000000002C10: 7E9E0280
	v_mov_b32_e32 v80, 0                                       // 000000002C14: 7EA00280
	v_mov_b32_e32 v81, 0                                       // 000000002C18: 7EA20280
	v_mov_b32_e32 v82, 0                                       // 000000002C1C: 7EA40280
	v_mov_b32_e32 v83, 0                                       // 000000002C20: 7EA60280
	v_mov_b32_e32 v84, 0                                       // 000000002C24: 7EA80280
	v_mov_b32_e32 v85, 0                                       // 000000002C28: 7EAA0280
	v_mov_b32_e32 v86, 0                                       // 000000002C2C: 7EAC0280
	v_mov_b32_e32 v87, 0                                       // 000000002C30: 7EAE0280
	v_mov_b32_e32 v88, 0                                       // 000000002C34: 7EB00280
	v_mov_b32_e32 v89, 0                                       // 000000002C38: 7EB20280
	v_mov_b32_e32 v90, 0                                       // 000000002C3C: 7EB40280
	v_mov_b32_e32 v91, 0                                       // 000000002C40: 7EB60280
	v_mov_b32_e32 v92, 0                                       // 000000002C44: 7EB80280
	v_mov_b32_e32 v93, 0                                       // 000000002C48: 7EBA0280
	v_mov_b32_e32 v94, 0                                       // 000000002C4C: 7EBC0280
	v_mov_b32_e32 v95, 0                                       // 000000002C50: 7EBE0280
	v_mov_b32_e32 v96, 0                                       // 000000002C54: 7EC00280
	v_mov_b32_e32 v97, 0                                       // 000000002C58: 7EC20280
	v_mov_b32_e32 v98, 0                                       // 000000002C5C: 7EC40280
	v_mov_b32_e32 v99, 0                                       // 000000002C60: 7EC60280
	v_mov_b32_e32 v100, 0                                      // 000000002C64: 7EC80280
	v_mov_b32_e32 v101, 0                                      // 000000002C68: 7ECA0280
	v_mov_b32_e32 v102, 0                                      // 000000002C6C: 7ECC0280
	v_mov_b32_e32 v103, 0                                      // 000000002C70: 7ECE0280
	v_mov_b32_e32 v104, 0                                      // 000000002C74: 7ED00280
	v_mov_b32_e32 v105, 0                                      // 000000002C78: 7ED20280
	v_mov_b32_e32 v106, 0                                      // 000000002C7C: 7ED40280
	v_mov_b32_e32 v107, 0                                      // 000000002C80: 7ED60280
	v_mov_b32_e32 v108, 0                                      // 000000002C84: 7ED80280
	v_mov_b32_e32 v109, 0                                      // 000000002C88: 7EDA0280
	v_mov_b32_e32 v110, 0                                      // 000000002C8C: 7EDC0280
	v_mov_b32_e32 v111, 0                                      // 000000002C90: 7EDE0280
	v_mov_b32_e32 v112, 0                                      // 000000002C94: 7EE00280
	v_mov_b32_e32 v113, 0                                      // 000000002C98: 7EE20280
	v_mov_b32_e32 v114, 0                                      // 000000002C9C: 7EE40280
	v_mov_b32_e32 v115, 0                                      // 000000002CA0: 7EE60280
	v_mov_b32_e32 v116, 0                                      // 000000002CA4: 7EE80280
	v_mov_b32_e32 v117, 0                                      // 000000002CA8: 7EEA0280
	v_mov_b32_e32 v118, 0                                      // 000000002CAC: 7EEC0280
	v_mov_b32_e32 v119, 0                                      // 000000002CB0: 7EEE0280
	v_mov_b32_e32 v120, 0                                      // 000000002CB4: 7EF00280
	v_mov_b32_e32 v121, 0                                      // 000000002CB8: 7EF20280
	v_mov_b32_e32 v122, 0                                      // 000000002CBC: 7EF40280
	v_mov_b32_e32 v123, 0                                      // 000000002CC0: 7EF60280
	v_mov_b32_e32 v124, 0                                      // 000000002CC4: 7EF80280
	v_mov_b32_e32 v125, 0                                      // 000000002CC8: 7EFA0280
	v_mov_b32_e32 v126, 0                                      // 000000002CCC: 7EFC0280
	v_mov_b32_e32 v127, 0                                      // 000000002CD0: 7EFE0280
	v_mov_b32_e32 v128, 0                                      // 000000002CD4: 7F000280
	v_mov_b32_e32 v129, 0                                      // 000000002CD8: 7F020280
	v_mov_b32_e32 v130, 0                                      // 000000002CDC: 7F040280
	v_mov_b32_e32 v131, 0                                      // 000000002CE0: 7F060280
	v_mov_b32_e32 v132, 0                                      // 000000002CE4: 7F080280
	v_mov_b32_e32 v133, 0                                      // 000000002CE8: 7F0A0280
	v_mov_b32_e32 v134, 0                                      // 000000002CEC: 7F0C0280
	v_mov_b32_e32 v135, 0                                      // 000000002CF0: 7F0E0280
	v_mov_b32_e32 v136, 0                                      // 000000002CF4: 7F100280
	v_mov_b32_e32 v137, 0                                      // 000000002CF8: 7F120280
	v_mov_b32_e32 v138, 0                                      // 000000002CFC: 7F140280
	v_mov_b32_e32 v139, 0                                      // 000000002D00: 7F160280
	v_mov_b32_e32 v140, 0                                      // 000000002D04: 7F180280
	v_mov_b32_e32 v141, 0                                      // 000000002D08: 7F1A0280
	v_mov_b32_e32 v142, 0                                      // 000000002D0C: 7F1C0280
	v_mov_b32_e32 v143, 0                                      // 000000002D10: 7F1E0280
	v_mov_b32_e32 v144, 0                                      // 000000002D14: 7F200280
	v_mov_b32_e32 v145, 0                                      // 000000002D18: 7F220280
	v_mov_b32_e32 v146, 0                                      // 000000002D1C: 7F240280
	v_mov_b32_e32 v147, 0                                      // 000000002D20: 7F260280
	v_mov_b32_e32 v148, 0                                      // 000000002D24: 7F280280
	v_mov_b32_e32 v149, 0                                      // 000000002D28: 7F2A0280
	v_mov_b32_e32 v150, 0                                      // 000000002D2C: 7F2C0280
	v_mov_b32_e32 v151, 0                                      // 000000002D30: 7F2E0280
	v_mov_b32_e32 v152, 0                                      // 000000002D34: 7F300280
	v_mov_b32_e32 v153, 0                                      // 000000002D38: 7F320280
	v_mov_b32_e32 v154, 0                                      // 000000002D3C: 7F340280
	v_mov_b32_e32 v155, 0                                      // 000000002D40: 7F360280
	v_mov_b32_e32 v156, 0                                      // 000000002D44: 7F380280
	v_mov_b32_e32 v157, 0                                      // 000000002D48: 7F3A0280
	v_mov_b32_e32 v158, 0                                      // 000000002D4C: 7F3C0280
	v_mov_b32_e32 v159, 0                                      // 000000002D50: 7F3E0280
	v_mov_b32_e32 v160, 0                                      // 000000002D54: 7F400280
	v_mov_b32_e32 v161, 0                                      // 000000002D58: 7F420280
	v_mov_b32_e32 v162, 0                                      // 000000002D5C: 7F440280
	v_mov_b32_e32 v163, 0                                      // 000000002D60: 7F460280
	v_mov_b32_e32 v164, 0                                      // 000000002D64: 7F480280
	v_mov_b32_e32 v165, 0                                      // 000000002D68: 7F4A0280
	v_mov_b32_e32 v166, 0                                      // 000000002D6C: 7F4C0280
	v_mov_b32_e32 v167, 0                                      // 000000002D70: 7F4E0280
	v_mov_b32_e32 v168, 0                                      // 000000002D74: 7F500280
	v_mov_b32_e32 v169, 0                                      // 000000002D78: 7F520280
	v_mov_b32_e32 v170, 0                                      // 000000002D7C: 7F540280
	v_mov_b32_e32 v171, 0                                      // 000000002D80: 7F560280
	v_mov_b32_e32 v172, 0                                      // 000000002D84: 7F580280
	v_mov_b32_e32 v173, 0                                      // 000000002D88: 7F5A0280
	v_mov_b32_e32 v174, 0                                      // 000000002D8C: 7F5C0280
	v_mov_b32_e32 v175, 0                                      // 000000002D90: 7F5E0280
	v_mov_b32_e32 v176, 0                                      // 000000002D94: 7F600280
	v_mov_b32_e32 v177, 0                                      // 000000002D98: 7F620280
	v_mov_b32_e32 v178, 0                                      // 000000002D9C: 7F640280
	v_mov_b32_e32 v179, 0                                      // 000000002DA0: 7F660280
	v_mov_b32_e32 v180, 0                                      // 000000002DA4: 7F680280
	v_mov_b32_e32 v181, 0                                      // 000000002DA8: 7F6A0280
	v_mov_b32_e32 v182, 0                                      // 000000002DAC: 7F6C0280
	v_mov_b32_e32 v183, 0                                      // 000000002DB0: 7F6E0280
	v_lshrrev_b32_e32 v27, 4, v0                               // 000000002DB4: 20360084
	v_lshlrev_b32_e32 v27, 2, v27                              // 000000002DB8: 24363682
	v_sub_u32_e32 v28, 12, v27                                 // 000000002DBC: 6A38368C
	v_mov_b32_e32 v29, v28                                     // 000000002DC0: 7E3A031C
	s_nop 1                                                    // 000000002DC4: BF800001
	v_permlane16_swap_b32_e32 v28, v29                         // 000000002DC8: 7E38B31D
	s_nop 1                                                    // 000000002DCC: BF800001
	v_permlane16_swap_b32_e32 v29, v28                         // 000000002DD0: 7E3AB31C
	s_mov_b32 s56, 0xff00ff00                                  // 000000002DD4: BEB800FF FF00FF00
	s_mov_b32 s57, 0xff00ff00                                  // 000000002DDC: BEB900FF FF00FF00
	v_cndmask_b32_e64 v29, v27, v28, s[56:57]                  // 000000002DE4: D100001D 00E2391B
	v_and_b32_e32 v27, 15, v0                                  // 000000002DEC: 2636008F
	v_lshlrev_b32_e32 v27, 4, v27                              // 000000002DF0: 24363684
	v_add_u32_e32 v20, v27, v29                                // 000000002DF4: 68283B1B
	v_lshlrev_b32_e32 v21, 2, v20                              // 000000002DF8: 242A2882
	s_mov_b32 s56, 0xb000                                      // 000000002DFC: BEB800FF 0000B000
	v_add_u32_e32 v20, s56, v21                                // 000000002E04: 68282A38
	s_mov_b32 s57, 0x9000                                      // 000000002E08: BEB900FF 00009000
	v_add_u32_e32 v21, s57, v20                                // 000000002E10: 682A2839
	v_add_u32_e32 v22, s57, v21                                // 000000002E14: 682C2A39
	v_and_b32_e32 v27, 15, v0                                  // 000000002E18: 2636008F
	v_lshrrev_b32_e32 v27, 1, v27                              // 000000002E1C: 20363681
	v_lshlrev_b32_e32 v27, 4, v27                              // 000000002E20: 24363684
	v_and_b32_e32 v28, 1, v0                                   // 000000002E24: 26380081
	v_lshlrev_b32_e32 v28, 1, v28                              // 000000002E28: 24383881
	v_and_b32_e32 v29, 31, v0                                  // 000000002E2C: 263A009F
	v_lshrrev_b32_e32 v29, 4, v29                              // 000000002E30: 203A3A84
	v_lshlrev_b32_e32 v29, 2, v29                              // 000000002E34: 243A3A82
	v_lshrrev_b32_e32 v30, 5, v0                               // 000000002E38: 203C0085
	s_mov_b32 s56, 0x900                                       // 000000002E3C: BEB800FF 00000900
	v_mul_i32_i24_e32 v30, s56, v30                            // 000000002E44: 0C3C3C38
	v_add_u32_e32 v6, v27, v28                                 // 000000002E48: 680C391B
	v_add_u32_e32 v6, v29, v6                                  // 000000002E4C: 680C0D1D
	v_add_u32_e32 v6, v30, v6                                  // 000000002E50: 680C0D1E
	s_mov_b32 s56, 0x88                                        // 000000002E54: BEB800FF 00000088
	v_add_u32_e32 v7, s56, v6                                  // 000000002E5C: 680E0C38
	s_mov_b32 s56, 8                                           // 000000002E60: BEB80088
	v_add_u32_e32 v8, s56, v6                                  // 000000002E64: 68100C38
	s_mov_b32 s56, 0x80                                        // 000000002E68: BEB800FF 00000080
	v_add_u32_e32 v9, s56, v6                                  // 000000002E70: 68120C38
	s_and_b32 s56, 1, s7                                       // 000000002E74: 86380781
	s_mov_b32 s57, 0x400                                       // 000000002E78: BEB900FF 00000400
	s_mul_i32 s56, s57, s56                                    // 000000002E80: 92383839
	v_add_u32_e32 v6, s56, v6                                  // 000000002E84: 680C0C38
	v_add_u32_e32 v7, s56, v7                                  // 000000002E88: 680E0E38
	v_add_u32_e32 v8, s56, v8                                  // 000000002E8C: 68101038
	v_add_u32_e32 v9, s56, v9                                  // 000000002E90: 68121238
	v_lshlrev_b32_e32 v6, 2, v6                                // 000000002E94: 240C0C82
	v_lshlrev_b32_e32 v7, 2, v7                                // 000000002E98: 240E0E82
	v_lshlrev_b32_e32 v8, 2, v8                                // 000000002E9C: 24101082
	v_lshlrev_b32_e32 v9, 2, v9                                // 000000002EA0: 24121282
	s_mov_b32 s56, 0xb000                                      // 000000002EA4: BEB800FF 0000B000
	v_add_u32_e32 v6, s56, v6                                  // 000000002EAC: 680C0C38
	v_add_u32_e32 v7, s56, v7                                  // 000000002EB0: 680E0E38
	v_add_u32_e32 v8, s56, v8                                  // 000000002EB4: 68101038
	v_add_u32_e32 v9, s56, v9                                  // 000000002EB8: 68121238
	s_mov_b32 s56, 0x9000                                      // 000000002EBC: BEB800FF 00009000
	v_add_u32_e32 v10, s56, v6                                 // 000000002EC4: 68140C38
	v_add_u32_e32 v11, s56, v7                                 // 000000002EC8: 68160E38
	v_add_u32_e32 v12, s56, v8                                 // 000000002ECC: 68181038
	v_add_u32_e32 v13, s56, v9                                 // 000000002ED0: 681A1238
	v_add_u32_e32 v14, s56, v10                                // 000000002ED4: 681C1438
	v_add_u32_e32 v15, s56, v11                                // 000000002ED8: 681E1638
	v_add_u32_e32 v16, s56, v12                                // 000000002EDC: 68201838
	v_add_u32_e32 v17, s56, v13                                // 000000002EE0: 68221A38
	v_mul_u32_u24_e64 v30, v24, s68                            // 000000002EE4: D108001E 00008918
	v_add_u32_e32 v30, v30, v1                                 // 000000002EEC: 683C031E
	s_mov_b32 s56, 0x1d000                                     // 000000002EF0: BEB800FF 0001D000
	s_mul_i32 s57, s7, 0x2400                                  // 000000002EF8: 9239FF07 00002400
	s_add_u32 m0, s56, s57                                     // 000000002F00: 807C3938
	buffer_load_dwordx4 v30, s[20:23], 0 offen lds             // 000000002F04: E05D1000 8005001E
	s_add_i32 m0, m0, 0x3c0                                    // 000000002F0C: 817CFF7C 000003C0
	buffer_load_dwordx4 v30, s[20:23], 0 offen offset:64 lds   // 000000002F14: E05D1040 8005001E
	s_add_i32 m0, m0, 0x3c0                                    // 000000002F1C: 817CFF7C 000003C0
	buffer_load_dwordx4 v30, s[20:23], 0 offen offset:128 lds  // 000000002F24: E05D1080 8005001E
	s_add_i32 m0, m0, 0x3c0                                    // 000000002F2C: 817CFF7C 000003C0
	buffer_load_dwordx4 v30, s[20:23], 0 offen offset:192 lds  // 000000002F34: E05D10C0 8005001E
	s_add_i32 m0, m0, 0x3c0                                    // 000000002F3C: 817CFF7C 000003C0
	buffer_load_dwordx4 v30, s[20:23], 0 offen offset:256 lds  // 000000002F44: E05D1100 8005001E
	s_add_i32 m0, m0, 0x3c0                                    // 000000002F4C: 817CFF7C 000003C0
	buffer_load_dwordx4 v30, s[20:23], 0 offen offset:320 lds  // 000000002F54: E05D1140 8005001E
	s_add_i32 m0, m0, 0x3c0                                    // 000000002F5C: 817CFF7C 000003C0
	buffer_load_dwordx4 v30, s[20:23], 0 offen offset:384 lds  // 000000002F64: E05D1180 8005001E
	s_add_i32 m0, m0, 0x3c0                                    // 000000002F6C: 817CFF7C 000003C0
	buffer_load_dwordx4 v30, s[20:23], 0 offen offset:448 lds  // 000000002F74: E05D11C0 8005001E
	s_add_i32 m0, m0, 0x3c0                                    // 000000002F7C: 817CFF7C 000003C0
	buffer_load_dwordx4 v30, s[20:23], 0 offen offset:512 lds  // 000000002F84: E05D1200 8005001E
	s_add_i32 m0, m0, 0x3c0                                    // 000000002F8C: 817CFF7C 000003C0
	buffer_load_dword v23, v26, s[24:27], 0 offen              // 000000002F94: E0501000 8006171A
	v_add_u32_e32 v26, s73, v26                                // 000000002F9C: 68343449
	s_waitcnt vmcnt(10)                                        // 000000002FA0: BF8C0F7A
	s_barrier                                                  // 000000002FA4: BF8A0000
	s_waitcnt lgkmcnt(0)                                       // 000000002FA8: BF8CC07F
	ds_read_b128 a[40:43], v21                                 // 000000002FAC: DBFE0000 28000015
	ds_read_b128 a[44:47], v21 offset:1024                     // 000000002FB4: DBFE0400 2C000015
	ds_read_b128 a[48:51], v21 offset:2048                     // 000000002FBC: DBFE0800 30000015
	ds_read_b128 a[52:55], v21 offset:3072                     // 000000002FC4: DBFE0C00 34000015
	ds_read_b128 a[56:59], v21 offset:4096                     // 000000002FCC: DBFE1000 38000015
	ds_read_b128 a[60:63], v21 offset:5120                     // 000000002FD4: DBFE1400 3C000015
	ds_read_b128 a[64:67], v21 offset:6144                     // 000000002FDC: DBFE1800 40000015
	ds_read_b128 a[68:71], v21 offset:7168                     // 000000002FE4: DBFE1C00 44000015
	ds_read_b128 a[72:75], v21 offset:8192                     // 000000002FEC: DBFE2000 48000015
	ds_read_b128 a[80:83], v21 offset:9216                     // 000000002FF4: DBFE2400 50000015
	ds_read_b128 a[84:87], v21 offset:10240                    // 000000002FFC: DBFE2800 54000015
	ds_read_b128 a[88:91], v21 offset:11264                    // 000000003004: DBFE2C00 58000015
	ds_read_b128 a[92:95], v21 offset:12288                    // 00000000300C: DBFE3000 5C000015
	ds_read_b128 a[96:99], v21 offset:13312                    // 000000003014: DBFE3400 60000015
	ds_read_b128 a[100:103], v21 offset:14336                  // 00000000301C: DBFE3800 64000015
	ds_read_b128 a[104:107], v21 offset:15360                  // 000000003024: DBFE3C00 68000015
	ds_read_b128 a[108:111], v21 offset:16384                  // 00000000302C: DBFE4000 6C000015
	ds_read_b128 a[112:115], v21 offset:17408                  // 000000003034: DBFE4400 70000015
	s_cmp_lt_u32 s71, 1                                        // 00000000303C: BF0A8147
	s_cbranch_scc1 label_4898                                  // 000000003040: BF850F15
	s_cmp_lt_i32 s7, 2                                         // 000000003044: BF048207
	s_cbranch_scc0 label_2A74                                  // 000000003048: BF84078A

000000000000304c <label_0C4C>:
	s_waitcnt lgkmcnt(4)                                       // 00000000304C: BF8CC47F
	v_mfma_f32_16x16x128_f8f6f4 v[36:39], a[40:47], a[0:7], 0  // 000000003050: D3AD0024 1A020128
	v_mul_u32_u24_e64 v30, v25, s68                            // 000000003058: D108001E 00008919
	v_add_u32_e32 v30, v30, v1                                 // 000000003060: 683C031E
	buffer_load_dword v24, v26, s[24:27], 0 offen              // 000000003064: E0501000 8006181A
	ds_read_b128 a[40:43], v21 offset:18432                    // 00000000306C: DBFE4800 28000015
	v_mfma_f32_16x16x128_f8f6f4 v[36:39], a[48:55], a[8:15], v[36:39]// 000000003074: D3AD0024 1C921130
	s_mov_b32 s56, 0xb000                                      // 00000000307C: BEB800FF 0000B000
	s_mul_i32 s57, s7, 0x2400                                  // 000000003084: 9239FF07 00002400
	s_add_u32 m0, s56, s57                                     // 00000000308C: 807C3938
	buffer_load_dwordx4 v30, s[20:23], 0 offen lds             // 000000003090: E05D1000 8005001E
	s_add_i32 m0, m0, 0x3c0                                    // 000000003098: 817CFF7C 000003C0
	v_mfma_f32_16x16x128_f8f6f4 v[36:39], a[56:63], a[16:23], v[36:39]// 0000000030A0: D3AD0024 1C922138
	ds_read_b128 a[44:47], v21 offset:19456                    // 0000000030A8: DBFE4C00 2C000015
	v_mfma_f32_16x16x128_f8f6f4 v[36:39], a[64:71], a[24:31], v[36:39]// 0000000030B0: D3AD0024 1C923140
	buffer_load_dwordx4 v30, s[20:23], 0 offen offset:64 lds   // 0000000030B8: E05D1040 8005001E
	s_add_i32 m0, m0, 0x3c0                                    // 0000000030C0: 817CFF7C 000003C0
	v_mfma_f32_16x16x128_f8f6f4 v[36:39], a[72:79], a[32:39], v[36:39]// 0000000030C8: D3AD0024 1C924148
	ds_read_b128 a[48:51], v21 offset:20480                    // 0000000030D0: DBFE5000 30000015
	v_mfma_f32_16x16x128_f8f6f4 v[40:43], a[80:87], a[0:7], 0  // 0000000030D8: D3AD0028 1A020150
	buffer_load_dwordx4 v30, s[20:23], 0 offen offset:128 lds  // 0000000030E0: E05D1080 8005001E
	s_add_i32 m0, m0, 0x3c0                                    // 0000000030E8: 817CFF7C 000003C0
	v_mfma_f32_16x16x128_f8f6f4 v[40:43], a[88:95], a[8:15], v[40:43]// 0000000030F0: D3AD0028 1CA21158
	ds_read_b128 a[52:55], v21 offset:21504                    // 0000000030F8: DBFE5400 34000015
	v_mfma_f32_16x16x128_f8f6f4 v[40:43], a[96:103], a[16:23], v[40:43]// 000000003100: D3AD0028 1CA22160
	buffer_load_dwordx4 v30, s[20:23], 0 offen offset:192 lds  // 000000003108: E05D10C0 8005001E
	s_add_i32 m0, m0, 0x3c0                                    // 000000003110: 817CFF7C 000003C0
	v_mfma_f32_16x16x128_f8f6f4 v[40:43], a[104:111], a[24:31], v[40:43]// 000000003118: D3AD0028 1CA23168
	ds_read_b128 a[56:59], v21 offset:22528                    // 000000003120: DBFE5800 38000015
	v_mfma_f32_16x16x128_f8f6f4 v[40:43], a[112:119], a[32:39], v[40:43]// 000000003128: D3AD0028 1CA24170
	buffer_load_dwordx4 v30, s[20:23], 0 offen offset:256 lds  // 000000003130: E05D1100 8005001E
	s_add_i32 m0, m0, 0x3c0                                    // 000000003138: 817CFF7C 000003C0
	buffer_load_dwordx4 v30, s[20:23], 0 offen offset:320 lds  // 000000003140: E05D1140 8005001E
	s_add_i32 m0, m0, 0x3c0                                    // 000000003148: 817CFF7C 000003C0
	buffer_load_dwordx4 v30, s[20:23], 0 offen offset:384 lds  // 000000003150: E05D1180 8005001E
	s_add_i32 m0, m0, 0x3c0                                    // 000000003158: 817CFF7C 000003C0
	buffer_load_dwordx4 v30, s[20:23], 0 offen offset:448 lds  // 000000003160: E05D11C0 8005001E
	s_add_i32 m0, m0, 0x3c0                                    // 000000003168: 817CFF7C 000003C0
	buffer_load_dwordx4 v30, s[20:23], 0 offen offset:512 lds  // 000000003170: E05D1200 8005001E
	s_add_i32 m0, m0, 0x3c0                                    // 000000003178: 817CFF7C 000003C0
	ds_read_b128 a[60:63], v21 offset:23552                    // 000000003180: DBFE5C00 3C000015
	ds_read_b128 a[64:67], v21 offset:24576                    // 000000003188: DBFE6000 40000015
	ds_read_b128 a[68:71], v21 offset:25600                    // 000000003190: DBFE6400 44000015
	ds_read_b128 a[72:75], v21 offset:26624                    // 000000003198: DBFE6800 48000015
	ds_read_b128 a[80:83], v21 offset:27648                    // 0000000031A0: DBFE6C00 50000015
	ds_read_b128 a[84:87], v21 offset:28672                    // 0000000031A8: DBFE7000 54000015
	ds_read_b128 a[88:91], v21 offset:29696                    // 0000000031B0: DBFE7400 58000015
	ds_read_b128 a[92:95], v21 offset:30720                    // 0000000031B8: DBFE7800 5C000015
	ds_read_b128 a[96:99], v21 offset:31744                    // 0000000031C0: DBFE7C00 60000015
	ds_read_b128 a[100:103], v21 offset:32768                  // 0000000031C8: DBFE8000 64000015
	ds_read_b128 a[104:107], v21 offset:33792                  // 0000000031D0: DBFE8400 68000015
	ds_read_b128 a[108:111], v21 offset:34816                  // 0000000031D8: DBFE8800 6C000015
	ds_read_b128 a[112:115], v21 offset:35840                  // 0000000031E0: DBFE8C00 70000015
	v_add_u32_e32 v26, s73, v26                                // 0000000031E8: 68343449
	s_waitcnt lgkmcnt(4)                                       // 0000000031EC: BF8CC47F
	v_mfma_f32_16x16x128_f8f6f4 v[44:47], a[40:47], a[0:7], 0  // 0000000031F0: D3AD002C 1A020128
	ds_read_b64_tr_b8 a[120:121], v10                          // 0000000031F8: DBC40000 7800000A
	ds_read_b64_tr_b8 a[122:123], v11                          // 000000003200: DBC40000 7A00000B
	ds_read_b64_tr_b8 a[124:125], v10 offset:18432             // 000000003208: DBC44800 7C00000A
	ds_read_b64_tr_b8 a[126:127], v11 offset:18432             // 000000003210: DBC44800 7E00000B
	v_mfma_f32_16x16x128_f8f6f4 v[44:47], a[48:55], a[8:15], v[44:47]// 000000003218: D3AD002C 1CB21130
	v_mfma_f32_16x16x128_f8f6f4 v[44:47], a[56:63], a[16:23], v[44:47]// 000000003220: D3AD002C 1CB22138
	ds_read_b64_tr_b8 a[128:129], v12                          // 000000003228: DBC40000 8000000C
	ds_read_b64_tr_b8 a[130:131], v13                          // 000000003230: DBC40000 8200000D
	ds_read_b64_tr_b8 a[132:133], v12 offset:18432             // 000000003238: DBC44800 8400000C
	ds_read_b64_tr_b8 a[134:135], v13 offset:18432             // 000000003240: DBC44800 8600000D
	v_mfma_f32_16x16x128_f8f6f4 v[44:47], a[64:71], a[24:31], v[44:47]// 000000003248: D3AD002C 1CB23140
	v_mfma_f32_16x16x128_f8f6f4 v[44:47], a[72:79], a[32:39], v[44:47]// 000000003250: D3AD002C 1CB24148
	ds_read_b64_tr_b8 a[136:137], v10 offset:1024              // 000000003258: DBC40400 8800000A
	ds_read_b64_tr_b8 a[138:139], v11 offset:1024              // 000000003260: DBC40400 8A00000B
	ds_read_b64_tr_b8 a[140:141], v10 offset:19456             // 000000003268: DBC44C00 8C00000A
	ds_read_b64_tr_b8 a[142:143], v11 offset:19456             // 000000003270: DBC44C00 8E00000B
	v_mfma_f32_16x16x128_f8f6f4 v[48:51], a[80:87], a[0:7], 0  // 000000003278: D3AD0030 1A020150
	v_mfma_f32_16x16x128_f8f6f4 v[48:51], a[88:95], a[8:15], v[48:51]// 000000003280: D3AD0030 1CC21158
	ds_read_b64_tr_b8 a[144:145], v12 offset:1024              // 000000003288: DBC40400 9000000C
	ds_read_b64_tr_b8 a[146:147], v13 offset:1024              // 000000003290: DBC40400 9200000D
	ds_read_b64_tr_b8 a[148:149], v12 offset:19456             // 000000003298: DBC44C00 9400000C
	ds_read_b64_tr_b8 a[150:151], v13 offset:19456             // 0000000032A0: DBC44C00 9600000D
	v_mfma_f32_16x16x128_f8f6f4 v[48:51], a[96:103], a[16:23], v[48:51]// 0000000032A8: D3AD0030 1CC22160
	v_mfma_f32_16x16x128_f8f6f4 v[48:51], a[104:111], a[24:31], v[48:51]// 0000000032B0: D3AD0030 1CC23168
	ds_read_b64_tr_b8 a[152:153], v10 offset:2048              // 0000000032B8: DBC40800 9800000A
	ds_read_b64_tr_b8 a[154:155], v11 offset:2048              // 0000000032C0: DBC40800 9A00000B
	ds_read_b64_tr_b8 a[156:157], v10 offset:20480             // 0000000032C8: DBC45000 9C00000A
	ds_read_b64_tr_b8 a[158:159], v11 offset:20480             // 0000000032D0: DBC45000 9E00000B
	v_mfma_f32_16x16x128_f8f6f4 v[48:51], a[112:119], a[32:39], v[48:51]// 0000000032D8: D3AD0030 1CC24170
	ds_read_b64_tr_b8 a[160:161], v12 offset:2048              // 0000000032E0: DBC40800 A000000C
	ds_read_b64_tr_b8 a[162:163], v13 offset:2048              // 0000000032E8: DBC40800 A200000D
	ds_read_b64_tr_b8 a[164:165], v12 offset:20480             // 0000000032F0: DBC45000 A400000C
	ds_read_b64_tr_b8 a[166:167], v13 offset:20480             // 0000000032F8: DBC45000 A600000D
	ds_read_b64_tr_b8 a[168:169], v10 offset:3072              // 000000003300: DBC40C00 A800000A
	ds_read_b64_tr_b8 a[170:171], v11 offset:3072              // 000000003308: DBC40C00 AA00000B
	ds_read_b64_tr_b8 a[172:173], v10 offset:21504             // 000000003310: DBC45400 AC00000A
	ds_read_b64_tr_b8 a[174:175], v11 offset:21504             // 000000003318: DBC45400 AE00000B
	ds_read_b64_tr_b8 a[176:177], v12 offset:3072              // 000000003320: DBC40C00 B000000C
	ds_read_b64_tr_b8 a[178:179], v13 offset:3072              // 000000003328: DBC40C00 B200000D
	ds_read_b64_tr_b8 a[180:181], v12 offset:21504             // 000000003330: DBC45400 B400000C
	ds_read_b64_tr_b8 a[182:183], v13 offset:21504             // 000000003338: DBC45400 B600000D
	s_cmp_le_i32 s83, s82                                      // 000000003340: BF055253
	s_cbranch_scc1 label_10F8                                  // 000000003344: BF85006C
	v_mov_b32_e32 v27, s82                                     // 000000003348: 7E360252
	v_add_i32 v27, s7, v27                                     // 00000000334C: D29C001B 00023607
	s_sub_u32 s56, s83, 63                                     // 000000003354: 80B8BF53
	v_lshrrev_b32_e32 v187, 4, v0                              // 000000003358: 21760084
	v_mul_i32_i24_e32 v187, 4, v187                            // 00000000335C: 0D777684
	v_add_u32_e32 v187, s56, v187                              // 000000003360: 69777638
	v_add_u32_e32 v188, 1, v187                                // 000000003364: 69797681
	v_add_u32_e32 v189, 2, v187                                // 000000003368: 697B7682
	v_add_u32_e32 v190, 3, v187                                // 00000000336C: 697D7683
	v_mov_b32_e32 v28, 0xff800000                              // 000000003370: 7E3802FF FF800000
	v_cmp_le_i32_e64 s[36:37], v187, v27                       // 000000003378: D0C30024 000237BB
	v_add_u32_e32 v187, 16, v187                               // 000000003380: 69777690
	s_nop 0                                                    // 000000003384: BF800000
	v_cndmask_b32_e64 v36, v28, v36, s[36:37]                  // 000000003388: D1000024 0092491C
	v_cmp_le_i32_e64 s[36:37], v188, v27                       // 000000003390: D0C30024 000237BC
	v_add_u32_e32 v188, 16, v188                               // 000000003398: 69797890
	s_nop 0                                                    // 00000000339C: BF800000
	v_cndmask_b32_e64 v37, v28, v37, s[36:37]                  // 0000000033A0: D1000025 00924B1C
	v_cmp_le_i32_e64 s[36:37], v189, v27                       // 0000000033A8: D0C30024 000237BD
	v_add_u32_e32 v189, 16, v189                               // 0000000033B0: 697B7A90
	s_nop 0                                                    // 0000000033B4: BF800000
	v_cndmask_b32_e64 v38, v28, v38, s[36:37]                  // 0000000033B8: D1000026 00924D1C
	v_cmp_le_i32_e64 s[36:37], v190, v27                       // 0000000033C0: D0C30024 000237BE
	v_add_u32_e32 v190, 16, v190                               // 0000000033C8: 697D7C90
	s_nop 0                                                    // 0000000033CC: BF800000
	v_cndmask_b32_e64 v39, v28, v39, s[36:37]                  // 0000000033D0: D1000027 00924F1C
	v_cmp_le_i32_e64 s[36:37], v187, v27                       // 0000000033D8: D0C30024 000237BB
	v_add_u32_e32 v187, 16, v187                               // 0000000033E0: 69777690
	s_nop 0                                                    // 0000000033E4: BF800000
	v_cndmask_b32_e64 v40, v28, v40, s[36:37]                  // 0000000033E8: D1000028 0092511C
	v_cmp_le_i32_e64 s[36:37], v188, v27                       // 0000000033F0: D0C30024 000237BC
	v_add_u32_e32 v188, 16, v188                               // 0000000033F8: 69797890
	s_nop 0                                                    // 0000000033FC: BF800000
	v_cndmask_b32_e64 v41, v28, v41, s[36:37]                  // 000000003400: D1000029 0092531C
	v_cmp_le_i32_e64 s[36:37], v189, v27                       // 000000003408: D0C30024 000237BD
	v_add_u32_e32 v189, 16, v189                               // 000000003410: 697B7A90
	s_nop 0                                                    // 000000003414: BF800000
	v_cndmask_b32_e64 v42, v28, v42, s[36:37]                  // 000000003418: D100002A 0092551C
	v_cmp_le_i32_e64 s[36:37], v190, v27                       // 000000003420: D0C30024 000237BE
	v_add_u32_e32 v190, 16, v190                               // 000000003428: 697D7C90
	s_nop 0                                                    // 00000000342C: BF800000
	v_cndmask_b32_e64 v43, v28, v43, s[36:37]                  // 000000003430: D100002B 0092571C
	v_cmp_le_i32_e64 s[36:37], v187, v27                       // 000000003438: D0C30024 000237BB
	v_add_u32_e32 v187, 16, v187                               // 000000003440: 69777690
	s_nop 0                                                    // 000000003444: BF800000
	v_cndmask_b32_e64 v44, v28, v44, s[36:37]                  // 000000003448: D100002C 0092591C
	v_cmp_le_i32_e64 s[36:37], v188, v27                       // 000000003450: D0C30024 000237BC
	v_add_u32_e32 v188, 16, v188                               // 000000003458: 69797890
	s_nop 0                                                    // 00000000345C: BF800000
	v_cndmask_b32_e64 v45, v28, v45, s[36:37]                  // 000000003460: D100002D 00925B1C
	v_cmp_le_i32_e64 s[36:37], v189, v27                       // 000000003468: D0C30024 000237BD
	v_add_u32_e32 v189, 16, v189                               // 000000003470: 697B7A90
	s_nop 0                                                    // 000000003474: BF800000
	v_cndmask_b32_e64 v46, v28, v46, s[36:37]                  // 000000003478: D100002E 00925D1C
	v_cmp_le_i32_e64 s[36:37], v190, v27                       // 000000003480: D0C30024 000237BE
	v_add_u32_e32 v190, 16, v190                               // 000000003488: 697D7C90
	s_nop 0                                                    // 00000000348C: BF800000
	v_cndmask_b32_e64 v47, v28, v47, s[36:37]                  // 000000003490: D100002F 00925F1C
	v_cmp_le_i32_e64 s[36:37], v187, v27                       // 000000003498: D0C30024 000237BB
	v_add_u32_e32 v187, 16, v187                               // 0000000034A0: 69777690
	s_nop 0                                                    // 0000000034A4: BF800000
	v_cndmask_b32_e64 v48, v28, v48, s[36:37]                  // 0000000034A8: D1000030 0092611C
	v_cmp_le_i32_e64 s[36:37], v188, v27                       // 0000000034B0: D0C30024 000237BC
	v_add_u32_e32 v188, 16, v188                               // 0000000034B8: 69797890
	s_nop 0                                                    // 0000000034BC: BF800000
	v_cndmask_b32_e64 v49, v28, v49, s[36:37]                  // 0000000034C0: D1000031 0092631C
	v_cmp_le_i32_e64 s[36:37], v189, v27                       // 0000000034C8: D0C30024 000237BD
	v_add_u32_e32 v189, 16, v189                               // 0000000034D0: 697B7A90
	s_nop 0                                                    // 0000000034D4: BF800000
	v_cndmask_b32_e64 v50, v28, v50, s[36:37]                  // 0000000034D8: D1000032 0092651C
	v_cmp_le_i32_e64 s[36:37], v190, v27                       // 0000000034E0: D0C30024 000237BE
	v_add_u32_e32 v190, 16, v190                               // 0000000034E8: 697D7C90
	s_nop 0                                                    // 0000000034EC: BF800000
	v_cndmask_b32_e64 v51, v28, v51, s[36:37]                  // 0000000034F0: D1000033 0092671C

00000000000034f8 <label_10F8>:
	s_add_u32 s83, s84, s83                                    // 0000000034F8: 80535354
	s_nop 2                                                    // 0000000034FC: BF800002
	v_mov_b32_e32 v28, v36                                     // 000000003500: 7E380324
	v_max3_f32 v28, v36, v37, v28                              // 000000003504: D1D3001C 04724B24
	v_max3_f32 v28, v38, v39, v28                              // 00000000350C: D1D3001C 04724F26
	v_max3_f32 v28, v40, v41, v28                              // 000000003514: D1D3001C 04725328
	v_max3_f32 v28, v42, v43, v28                              // 00000000351C: D1D3001C 0472572A
	v_max3_f32 v28, v44, v45, v28                              // 000000003524: D1D3001C 04725B2C
	v_max3_f32 v28, v46, v47, v28                              // 00000000352C: D1D3001C 04725F2E
	v_max3_f32 v28, v48, v49, v28                              // 000000003534: D1D3001C 04726330
	v_max3_f32 v28, v50, v51, v28                              // 00000000353C: D1D3001C 04726732
	v_mov_b32_e32 v27, v28                                     // 000000003544: 7E36031C
	v_mov_b32_e32 v28, v28                                     // 000000003548: 7E38031C
	s_nop 1                                                    // 00000000354C: BF800001
	v_permlane16_swap_b32_e32 v27, v28                         // 000000003550: 7E36B31C
	v_mov_b32_e32 v30, v27                                     // 000000003554: 7E3C031B
	v_mov_b32_e32 v29, v28                                     // 000000003558: 7E3A031C
	s_nop 1                                                    // 00000000355C: BF800001
	v_permlane32_swap_b32_e32 v27, v28                         // 000000003560: 7E36B51C
	v_permlane32_swap_b32_e32 v29, v30                         // 000000003564: 7E3AB51E
	v_max3_f32 v28, v27, v28, v28                              // 000000003568: D1D3001C 0472391B
	v_max3_f32 v28, v29, v30, v28                              // 000000003570: D1D3001C 04723D1D
	v_mov_b32_e32 v27, 0xff800000                              // 000000003578: 7E3602FF FF800000
	v_cmp_eq_u32_e64 s[36:37], v27, v2                         // 000000003580: D0CA0024 0002051B
	v_max_f32_e32 v28, v28, v2                                 // 000000003588: 1638051C
	v_sub_f32_e32 v18, v2, v28                                 // 00000000358C: 04243902
	v_cndmask_b32_e64 v18, v18, 0, s[36:37]                    // 000000003590: D1000012 00910112
	v_mov_b32_e32 v2, v28                                      // 000000003598: 7E04031C
	v_mul_f32_e32 v28, s5, v28                                 // 00000000359C: 0A383805
	v_mul_f32_e32 v18, s5, v18                                 // 0000000035A0: 0A242405
	v_exp_f32_e32 v18, v18                                     // 0000000035A4: 7E244112
	v_fma_f32 v36, v36, s5, -v28                               // 0000000035A8: D1CB0024 84700B24
	v_fma_f32 v37, v37, s5, -v28                               // 0000000035B0: D1CB0025 84700B25
	v_fma_f32 v38, v38, s5, -v28                               // 0000000035B8: D1CB0026 84700B26
	v_fma_f32 v39, v39, s5, -v28                               // 0000000035C0: D1CB0027 84700B27
	v_fma_f32 v40, v40, s5, -v28                               // 0000000035C8: D1CB0028 84700B28
	v_fma_f32 v41, v41, s5, -v28                               // 0000000035D0: D1CB0029 84700B29
	v_fma_f32 v42, v42, s5, -v28                               // 0000000035D8: D1CB002A 84700B2A
	v_fma_f32 v43, v43, s5, -v28                               // 0000000035E0: D1CB002B 84700B2B
	v_fma_f32 v44, v44, s5, -v28                               // 0000000035E8: D1CB002C 84700B2C
	v_fma_f32 v45, v45, s5, -v28                               // 0000000035F0: D1CB002D 84700B2D
	v_fma_f32 v46, v46, s5, -v28                               // 0000000035F8: D1CB002E 84700B2E
	v_fma_f32 v47, v47, s5, -v28                               // 000000003600: D1CB002F 84700B2F
	v_fma_f32 v48, v48, s5, -v28                               // 000000003608: D1CB0030 84700B30
	v_fma_f32 v49, v49, s5, -v28                               // 000000003610: D1CB0031 84700B31
	v_fma_f32 v50, v50, s5, -v28                               // 000000003618: D1CB0032 84700B32
	v_fma_f32 v51, v51, s5, -v28                               // 000000003620: D1CB0033 84700B33
	v_exp_f32_e32 v36, v36                                     // 000000003628: 7E484124
	v_exp_f32_e32 v37, v37                                     // 00000000362C: 7E4A4125
	v_exp_f32_e32 v38, v38                                     // 000000003630: 7E4C4126
	v_exp_f32_e32 v39, v39                                     // 000000003634: 7E4E4127
	v_exp_f32_e32 v40, v40                                     // 000000003638: 7E504128
	v_exp_f32_e32 v41, v41                                     // 00000000363C: 7E524129
	v_exp_f32_e32 v42, v42                                     // 000000003640: 7E54412A
	v_exp_f32_e32 v43, v43                                     // 000000003644: 7E56412B
	v_exp_f32_e32 v44, v44                                     // 000000003648: 7E58412C
	v_exp_f32_e32 v45, v45                                     // 00000000364C: 7E5A412D
	v_exp_f32_e32 v46, v46                                     // 000000003650: 7E5C412E
	v_exp_f32_e32 v47, v47                                     // 000000003654: 7E5E412F
	v_exp_f32_e32 v48, v48                                     // 000000003658: 7E604130
	v_exp_f32_e32 v49, v49                                     // 00000000365C: 7E624131
	v_exp_f32_e32 v50, v50                                     // 000000003660: 7E644132
	v_exp_f32_e32 v51, v51                                     // 000000003664: 7E664133
	v_mul_f32_e32 v4, v18, v4                                  // 000000003668: 0A080912
	v_mov_b32_e32 v27, v36                                     // 00000000366C: 7E360324
	v_add_f32_e32 v27, v37, v27                                // 000000003670: 02363725
	v_add_f32_e32 v27, v38, v27                                // 000000003674: 02363726
	;; [unrolled: 1-line block ×3, first 2 shown]
	v_add_f32_e32 v27, v40, v27                                // 00000000367C: 02363728
	v_add_f32_e32 v27, v41, v27                                // 000000003680: 02363729
	v_add_f32_e32 v27, v42, v27                                // 000000003684: 0236372A
	v_add_f32_e32 v27, v43, v27                                // 000000003688: 0236372B
	v_add_f32_e32 v27, v44, v27                                // 00000000368C: 0236372C
	v_add_f32_e32 v27, v45, v27                                // 000000003690: 0236372D
	v_add_f32_e32 v27, v46, v27                                // 000000003694: 0236372E
	v_add_f32_e32 v27, v47, v27                                // 000000003698: 0236372F
	v_add_f32_e32 v27, v48, v27                                // 00000000369C: 02363730
	v_add_f32_e32 v27, v49, v27                                // 0000000036A0: 02363731
	v_add_f32_e32 v27, v50, v27                                // 0000000036A4: 02363732
	v_add_f32_e32 v27, v51, v27                                // 0000000036A8: 02363733
	v_add_f32_e32 v4, v27, v4                                  // 0000000036AC: 0208091B
	v_cvt_pk_fp8_f32 v36, v36, v37                             // 0000000036B0: D2A20024 00024B24
	v_cvt_pk_fp8_f32 v36, v38, v39 op_sel:[0,0,1]              // 0000000036B8: D2A24024 00024F26
	v_cvt_pk_fp8_f32 v37, v40, v41                             // 0000000036C0: D2A20025 00025328
	v_cvt_pk_fp8_f32 v37, v42, v43 op_sel:[0,0,1]              // 0000000036C8: D2A24025 0002572A
	v_cvt_pk_fp8_f32 v38, v44, v45                             // 0000000036D0: D2A20026 00025B2C
	v_cvt_pk_fp8_f32 v38, v46, v47 op_sel:[0,0,1]              // 0000000036D8: D2A24026 00025F2E
	v_cvt_pk_fp8_f32 v39, v48, v49                             // 0000000036E0: D2A20027 00026330
	v_cvt_pk_fp8_f32 v39, v50, v51 op_sel:[0,0,1]              // 0000000036E8: D2A24027 00026732
	s_nop 0                                                    // 0000000036F0: BF800000
	v_permlane16_swap_b32_e32 v36, v37                         // 0000000036F4: 7E48B325
	v_permlane16_swap_b32_e32 v38, v39                         // 0000000036F8: 7E4CB327
	s_nop 0                                                    // 0000000036FC: BF800000
	v_permlane32_swap_b32_e32 v36, v38                         // 000000003700: 7E48B526
	v_permlane32_swap_b32_e32 v37, v39                         // 000000003704: 7E4AB527
	ds_write_b128 v32, v[36:39]                                // 000000003708: D9BE0000 00002420
	s_waitcnt lgkmcnt(0)                                       // 000000003710: BF8CC07F
	s_barrier                                                  // 000000003714: BF8A0000
	ds_read_b128 v[36:39], v33                                 // 000000003718: D9FE0000 24000021
	ds_read_b128 v[40:43], v33 offset:1024                     // 000000003720: D9FE0400 28000021
	s_waitcnt lgkmcnt(0)                                       // 000000003728: BF8CC07F
	v_permlane16_swap_b32_e32 v36, v40                         // 00000000372C: 7E48B328
	v_permlane16_swap_b32_e32 v37, v41                         // 000000003730: 7E4AB329
	v_permlane16_swap_b32_e32 v38, v42                         // 000000003734: 7E4CB32A
	v_permlane16_swap_b32_e32 v39, v43                         // 000000003738: 7E4EB32B
	v_permlane32_swap_b32_e32 v36, v40                         // 00000000373C: 7E48B528
	v_permlane32_swap_b32_e32 v37, v41                         // 000000003740: 7E4AB529
	v_permlane32_swap_b32_e32 v38, v42                         // 000000003744: 7E4CB52A
	v_permlane32_swap_b32_e32 v39, v43                         // 000000003748: 7E4EB52B
	ds_write_b32 v34, v18                                      // 00000000374C: D81A0000 00001222
	s_waitcnt lgkmcnt(0)                                       // 000000003754: BF8CC07F
	s_barrier                                                  // 000000003758: BF8A0000
	ds_read_b32 v27, v35                                       // 00000000375C: D86C0000 1B000023
	s_waitcnt lgkmcnt(0)                                       // 000000003764: BF8CC07F
	v_mul_f32_e32 v56, v27, v56                                // 000000003768: 0A70711B
	v_mul_f32_e32 v57, v27, v57                                // 00000000376C: 0A72731B
	v_mul_f32_e32 v58, v27, v58                                // 000000003770: 0A74751B
	v_mul_f32_e32 v59, v27, v59                                // 000000003774: 0A76771B
	v_mul_f32_e32 v60, v27, v60                                // 000000003778: 0A78791B
	v_mul_f32_e32 v61, v27, v61                                // 00000000377C: 0A7A7B1B
	v_mul_f32_e32 v62, v27, v62                                // 000000003780: 0A7C7D1B
	v_mul_f32_e32 v63, v27, v63                                // 000000003784: 0A7E7F1B
	v_mul_f32_e32 v64, v27, v64                                // 000000003788: 0A80811B
	v_mul_f32_e32 v65, v27, v65                                // 00000000378C: 0A82831B
	v_mul_f32_e32 v66, v27, v66                                // 000000003790: 0A84851B
	v_mul_f32_e32 v67, v27, v67                                // 000000003794: 0A86871B
	v_mul_f32_e32 v68, v27, v68                                // 000000003798: 0A88891B
	v_mul_f32_e32 v69, v27, v69                                // 00000000379C: 0A8A8B1B
	v_mul_f32_e32 v70, v27, v70                                // 0000000037A0: 0A8C8D1B
	v_mul_f32_e32 v71, v27, v71                                // 0000000037A4: 0A8E8F1B
	v_mul_f32_e32 v72, v27, v72                                // 0000000037A8: 0A90911B
	v_mul_f32_e32 v73, v27, v73                                // 0000000037AC: 0A92931B
	v_mul_f32_e32 v74, v27, v74                                // 0000000037B0: 0A94951B
	v_mul_f32_e32 v75, v27, v75                                // 0000000037B4: 0A96971B
	v_mul_f32_e32 v76, v27, v76                                // 0000000037B8: 0A98991B
	v_mul_f32_e32 v77, v27, v77                                // 0000000037BC: 0A9A9B1B
	v_mul_f32_e32 v78, v27, v78                                // 0000000037C0: 0A9C9D1B
	v_mul_f32_e32 v79, v27, v79                                // 0000000037C4: 0A9E9F1B
	v_mul_f32_e32 v80, v27, v80                                // 0000000037C8: 0AA0A11B
	v_mul_f32_e32 v81, v27, v81                                // 0000000037CC: 0AA2A31B
	v_mul_f32_e32 v82, v27, v82                                // 0000000037D0: 0AA4A51B
	v_mul_f32_e32 v83, v27, v83                                // 0000000037D4: 0AA6A71B
	v_mul_f32_e32 v84, v27, v84                                // 0000000037D8: 0AA8A91B
	v_mul_f32_e32 v85, v27, v85                                // 0000000037DC: 0AAAAB1B
	v_mul_f32_e32 v86, v27, v86                                // 0000000037E0: 0AACAD1B
	v_mul_f32_e32 v87, v27, v87                                // 0000000037E4: 0AAEAF1B
	v_mul_f32_e32 v88, v27, v88                                // 0000000037E8: 0AB0B11B
	v_mul_f32_e32 v89, v27, v89                                // 0000000037EC: 0AB2B31B
	v_mul_f32_e32 v90, v27, v90                                // 0000000037F0: 0AB4B51B
	v_mul_f32_e32 v91, v27, v91                                // 0000000037F4: 0AB6B71B
	v_mul_f32_e32 v92, v27, v92                                // 0000000037F8: 0AB8B91B
	v_mul_f32_e32 v93, v27, v93                                // 0000000037FC: 0ABABB1B
	v_mul_f32_e32 v94, v27, v94                                // 000000003800: 0ABCBD1B
	v_mul_f32_e32 v95, v27, v95                                // 000000003804: 0ABEBF1B
	v_mul_f32_e32 v96, v27, v96                                // 000000003808: 0AC0C11B
	v_mul_f32_e32 v97, v27, v97                                // 00000000380C: 0AC2C31B
	v_mul_f32_e32 v98, v27, v98                                // 000000003810: 0AC4C51B
	v_mul_f32_e32 v99, v27, v99                                // 000000003814: 0AC6C71B
	v_mul_f32_e32 v100, v27, v100                              // 000000003818: 0AC8C91B
	v_mul_f32_e32 v101, v27, v101                              // 00000000381C: 0ACACB1B
	v_mul_f32_e32 v102, v27, v102                              // 000000003820: 0ACCCD1B
	v_mul_f32_e32 v103, v27, v103                              // 000000003824: 0ACECF1B
	v_mul_f32_e32 v104, v27, v104                              // 000000003828: 0AD0D11B
	v_mul_f32_e32 v105, v27, v105                              // 00000000382C: 0AD2D31B
	v_mul_f32_e32 v106, v27, v106                              // 000000003830: 0AD4D51B
	v_mul_f32_e32 v107, v27, v107                              // 000000003834: 0AD6D71B
	v_mul_f32_e32 v108, v27, v108                              // 000000003838: 0AD8D91B
	v_mul_f32_e32 v109, v27, v109                              // 00000000383C: 0ADADB1B
	v_mul_f32_e32 v110, v27, v110                              // 000000003840: 0ADCDD1B
	v_mul_f32_e32 v111, v27, v111                              // 000000003844: 0ADEDF1B
	v_mul_f32_e32 v112, v27, v112                              // 000000003848: 0AE0E11B
	v_mul_f32_e32 v113, v27, v113                              // 00000000384C: 0AE2E31B
	v_mul_f32_e32 v114, v27, v114                              // 000000003850: 0AE4E51B
	v_mul_f32_e32 v115, v27, v115                              // 000000003854: 0AE6E71B
	v_mul_f32_e32 v116, v27, v116                              // 000000003858: 0AE8E91B
	v_mul_f32_e32 v117, v27, v117                              // 00000000385C: 0AEAEB1B
	v_mul_f32_e32 v118, v27, v118                              // 000000003860: 0AECED1B
	v_mul_f32_e32 v119, v27, v119                              // 000000003864: 0AEEEF1B
	v_mul_f32_e32 v120, v27, v120                              // 000000003868: 0AF0F11B
	v_mul_f32_e32 v121, v27, v121                              // 00000000386C: 0AF2F31B
	v_mul_f32_e32 v122, v27, v122                              // 000000003870: 0AF4F51B
	v_mul_f32_e32 v123, v27, v123                              // 000000003874: 0AF6F71B
	v_mul_f32_e32 v124, v27, v124                              // 000000003878: 0AF8F91B
	v_mul_f32_e32 v125, v27, v125                              // 00000000387C: 0AFAFB1B
	v_mul_f32_e32 v126, v27, v126                              // 000000003880: 0AFCFD1B
	v_mul_f32_e32 v127, v27, v127                              // 000000003884: 0AFEFF1B
	v_mul_f32_e32 v128, v27, v128                              // 000000003888: 0B01011B
	v_mul_f32_e32 v129, v27, v129                              // 00000000388C: 0B03031B
	v_mul_f32_e32 v130, v27, v130                              // 000000003890: 0B05051B
	v_mul_f32_e32 v131, v27, v131                              // 000000003894: 0B07071B
	v_mul_f32_e32 v132, v27, v132                              // 000000003898: 0B09091B
	v_mul_f32_e32 v133, v27, v133                              // 00000000389C: 0B0B0B1B
	v_mul_f32_e32 v134, v27, v134                              // 0000000038A0: 0B0D0D1B
	v_mul_f32_e32 v135, v27, v135                              // 0000000038A4: 0B0F0F1B
	v_mul_f32_e32 v136, v27, v136                              // 0000000038A8: 0B11111B
	v_mul_f32_e32 v137, v27, v137                              // 0000000038AC: 0B13131B
	v_mul_f32_e32 v138, v27, v138                              // 0000000038B0: 0B15151B
	v_mul_f32_e32 v139, v27, v139                              // 0000000038B4: 0B17171B
	v_mul_f32_e32 v140, v27, v140                              // 0000000038B8: 0B19191B
	v_mul_f32_e32 v141, v27, v141                              // 0000000038BC: 0B1B1B1B
	v_mul_f32_e32 v142, v27, v142                              // 0000000038C0: 0B1D1D1B
	v_mul_f32_e32 v143, v27, v143                              // 0000000038C4: 0B1F1F1B
	v_mul_f32_e32 v144, v27, v144                              // 0000000038C8: 0B21211B
	v_mul_f32_e32 v145, v27, v145                              // 0000000038CC: 0B23231B
	v_mul_f32_e32 v146, v27, v146                              // 0000000038D0: 0B25251B
	v_mul_f32_e32 v147, v27, v147                              // 0000000038D4: 0B27271B
	v_mul_f32_e32 v148, v27, v148                              // 0000000038D8: 0B29291B
	v_mul_f32_e32 v149, v27, v149                              // 0000000038DC: 0B2B2B1B
	v_mul_f32_e32 v150, v27, v150                              // 0000000038E0: 0B2D2D1B
	v_mul_f32_e32 v151, v27, v151                              // 0000000038E4: 0B2F2F1B
	v_mul_f32_e32 v152, v27, v152                              // 0000000038E8: 0B31311B
	v_mul_f32_e32 v153, v27, v153                              // 0000000038EC: 0B33331B
	v_mul_f32_e32 v154, v27, v154                              // 0000000038F0: 0B35351B
	v_mul_f32_e32 v155, v27, v155                              // 0000000038F4: 0B37371B
	v_mul_f32_e32 v156, v27, v156                              // 0000000038F8: 0B39391B
	v_mul_f32_e32 v157, v27, v157                              // 0000000038FC: 0B3B3B1B
	v_mul_f32_e32 v158, v27, v158                              // 000000003900: 0B3D3D1B
	v_mul_f32_e32 v159, v27, v159                              // 000000003904: 0B3F3F1B
	v_mul_f32_e32 v160, v27, v160                              // 000000003908: 0B41411B
	v_mul_f32_e32 v161, v27, v161                              // 00000000390C: 0B43431B
	v_mul_f32_e32 v162, v27, v162                              // 000000003910: 0B45451B
	v_mul_f32_e32 v163, v27, v163                              // 000000003914: 0B47471B
	v_mul_f32_e32 v164, v27, v164                              // 000000003918: 0B49491B
	v_mul_f32_e32 v165, v27, v165                              // 00000000391C: 0B4B4B1B
	v_mul_f32_e32 v166, v27, v166                              // 000000003920: 0B4D4D1B
	v_mul_f32_e32 v167, v27, v167                              // 000000003924: 0B4F4F1B
	v_mul_f32_e32 v168, v27, v168                              // 000000003928: 0B51511B
	v_mul_f32_e32 v169, v27, v169                              // 00000000392C: 0B53531B
	v_mul_f32_e32 v170, v27, v170                              // 000000003930: 0B55551B
	v_mul_f32_e32 v171, v27, v171                              // 000000003934: 0B57571B
	v_mul_f32_e32 v172, v27, v172                              // 000000003938: 0B59591B
	v_mul_f32_e32 v173, v27, v173                              // 00000000393C: 0B5B5B1B
	v_mul_f32_e32 v174, v27, v174                              // 000000003940: 0B5D5D1B
	v_mul_f32_e32 v175, v27, v175                              // 000000003944: 0B5F5F1B
	v_mul_f32_e32 v176, v27, v176                              // 000000003948: 0B61611B
	v_mul_f32_e32 v177, v27, v177                              // 00000000394C: 0B63631B
	v_mul_f32_e32 v178, v27, v178                              // 000000003950: 0B65651B
	v_mul_f32_e32 v179, v27, v179                              // 000000003954: 0B67671B
	v_mul_f32_e32 v180, v27, v180                              // 000000003958: 0B69691B
	v_mul_f32_e32 v181, v27, v181                              // 00000000395C: 0B6B6B1B
	v_mul_f32_e32 v182, v27, v182                              // 000000003960: 0B6D6D1B
	v_mul_f32_e32 v183, v27, v183                              // 000000003964: 0B6F6F1B
	s_waitcnt lgkmcnt(0)                                       // 000000003968: BF8CC07F
	v_mfma_f32_32x32x64_f8f6f4 v[56:71], a[120:127], v[36:43], v[56:71]// 00000000396C: D3AE0038 0CE24978
	v_mfma_f32_32x32x64_f8f6f4 v[72:87], a[128:135], v[36:43], v[72:87]// 000000003974: D3AE0048 0D224980
	v_mfma_f32_32x32x64_f8f6f4 v[88:103], a[136:143], v[36:43], v[88:103]// 00000000397C: D3AE0058 0D624988
	v_mfma_f32_32x32x64_f8f6f4 v[104:119], a[144:151], v[36:43], v[104:119]// 000000003984: D3AE0068 0DA24990
	v_mfma_f32_32x32x64_f8f6f4 v[120:135], a[152:159], v[36:43], v[120:135]// 00000000398C: D3AE0078 0DE24998
	v_mfma_f32_32x32x64_f8f6f4 v[136:151], a[160:167], v[36:43], v[136:151]// 000000003994: D3AE0088 0E2249A0
	v_mfma_f32_32x32x64_f8f6f4 v[152:167], a[168:175], v[36:43], v[152:167]// 00000000399C: D3AE0098 0E6249A8
	v_mfma_f32_32x32x64_f8f6f4 v[168:183], a[176:183], v[36:43], v[168:183]// 0000000039A4: D3AE00A8 0EA249B0
	s_waitcnt lgkmcnt(0)                                       // 0000000039AC: BF8CC07F
	s_waitcnt vmcnt(10)                                        // 0000000039B0: BF8C0F7A
	s_barrier                                                  // 0000000039B4: BF8A0000
	ds_read_b128 a[40:43], v22                                 // 0000000039B8: DBFE0000 28000016
	ds_read_b128 a[44:47], v22 offset:1024                     // 0000000039C0: DBFE0400 2C000016
	ds_read_b128 a[48:51], v22 offset:2048                     // 0000000039C8: DBFE0800 30000016
	ds_read_b128 a[52:55], v22 offset:3072                     // 0000000039D0: DBFE0C00 34000016
	ds_read_b128 a[56:59], v22 offset:4096                     // 0000000039D8: DBFE1000 38000016
	ds_read_b128 a[60:63], v22 offset:5120                     // 0000000039E0: DBFE1400 3C000016
	ds_read_b128 a[64:67], v22 offset:6144                     // 0000000039E8: DBFE1800 40000016
	ds_read_b128 a[68:71], v22 offset:7168                     // 0000000039F0: DBFE1C00 44000016
	ds_read_b128 a[72:75], v22 offset:8192                     // 0000000039F8: DBFE2000 48000016
	ds_read_b128 a[80:83], v22 offset:9216                     // 000000003A00: DBFE2400 50000016
	ds_read_b128 a[84:87], v22 offset:10240                    // 000000003A08: DBFE2800 54000016
	ds_read_b128 a[88:91], v22 offset:11264                    // 000000003A10: DBFE2C00 58000016
	ds_read_b128 a[92:95], v22 offset:12288                    // 000000003A18: DBFE3000 5C000016
	ds_read_b128 a[96:99], v22 offset:13312                    // 000000003A20: DBFE3400 60000016
	ds_read_b128 a[100:103], v22 offset:14336                  // 000000003A28: DBFE3800 64000016
	ds_read_b128 a[104:107], v22 offset:15360                  // 000000003A30: DBFE3C00 68000016
	ds_read_b128 a[108:111], v22 offset:16384                  // 000000003A38: DBFE4000 6C000016
	ds_read_b128 a[112:115], v22 offset:17408                  // 000000003A40: DBFE4400 70000016
	s_addk_i32 s70, 0x1                                        // 000000003A48: B7460001
	s_cmp_lt_i32 s70, s71                                      // 000000003A4C: BF044746
	s_cbranch_scc0 label_2A68                                  // 000000003A50: BF840505
	s_waitcnt lgkmcnt(4)                                       // 000000003A54: BF8CC47F
	v_mfma_f32_16x16x128_f8f6f4 v[36:39], a[40:47], a[0:7], 0  // 000000003A58: D3AD0024 1A020128
	v_mul_u32_u24_e64 v30, v23, s68                            // 000000003A60: D108001E 00008917
	v_add_u32_e32 v30, v30, v1                                 // 000000003A68: 683C031E
	buffer_load_dword v25, v26, s[24:27], 0 offen              // 000000003A6C: E0501000 8006191A
	ds_read_b128 a[40:43], v22 offset:18432                    // 000000003A74: DBFE4800 28000016
	v_mfma_f32_16x16x128_f8f6f4 v[36:39], a[48:55], a[8:15], v[36:39]// 000000003A7C: D3AD0024 1C921130
	s_mov_b32 s56, 0x14000                                     // 000000003A84: BEB800FF 00014000
	s_mul_i32 s57, s7, 0x2400                                  // 000000003A8C: 9239FF07 00002400
	s_add_u32 m0, s56, s57                                     // 000000003A94: 807C3938
	buffer_load_dwordx4 v30, s[20:23], 0 offen lds             // 000000003A98: E05D1000 8005001E
	s_add_i32 m0, m0, 0x3c0                                    // 000000003AA0: 817CFF7C 000003C0
	v_mfma_f32_16x16x128_f8f6f4 v[36:39], a[56:63], a[16:23], v[36:39]// 000000003AA8: D3AD0024 1C922138
	ds_read_b128 a[44:47], v22 offset:19456                    // 000000003AB0: DBFE4C00 2C000016
	v_mfma_f32_16x16x128_f8f6f4 v[36:39], a[64:71], a[24:31], v[36:39]// 000000003AB8: D3AD0024 1C923140
	buffer_load_dwordx4 v30, s[20:23], 0 offen offset:64 lds   // 000000003AC0: E05D1040 8005001E
	s_add_i32 m0, m0, 0x3c0                                    // 000000003AC8: 817CFF7C 000003C0
	v_mfma_f32_16x16x128_f8f6f4 v[36:39], a[72:79], a[32:39], v[36:39]// 000000003AD0: D3AD0024 1C924148
	ds_read_b128 a[48:51], v22 offset:20480                    // 000000003AD8: DBFE5000 30000016
	v_mfma_f32_16x16x128_f8f6f4 v[40:43], a[80:87], a[0:7], 0  // 000000003AE0: D3AD0028 1A020150
	buffer_load_dwordx4 v30, s[20:23], 0 offen offset:128 lds  // 000000003AE8: E05D1080 8005001E
	s_add_i32 m0, m0, 0x3c0                                    // 000000003AF0: 817CFF7C 000003C0
	v_mfma_f32_16x16x128_f8f6f4 v[40:43], a[88:95], a[8:15], v[40:43]// 000000003AF8: D3AD0028 1CA21158
	ds_read_b128 a[52:55], v22 offset:21504                    // 000000003B00: DBFE5400 34000016
	v_mfma_f32_16x16x128_f8f6f4 v[40:43], a[96:103], a[16:23], v[40:43]// 000000003B08: D3AD0028 1CA22160
	buffer_load_dwordx4 v30, s[20:23], 0 offen offset:192 lds  // 000000003B10: E05D10C0 8005001E
	s_add_i32 m0, m0, 0x3c0                                    // 000000003B18: 817CFF7C 000003C0
	v_mfma_f32_16x16x128_f8f6f4 v[40:43], a[104:111], a[24:31], v[40:43]// 000000003B20: D3AD0028 1CA23168
	ds_read_b128 a[56:59], v22 offset:22528                    // 000000003B28: DBFE5800 38000016
	v_mfma_f32_16x16x128_f8f6f4 v[40:43], a[112:119], a[32:39], v[40:43]// 000000003B30: D3AD0028 1CA24170
	buffer_load_dwordx4 v30, s[20:23], 0 offen offset:256 lds  // 000000003B38: E05D1100 8005001E
	s_add_i32 m0, m0, 0x3c0                                    // 000000003B40: 817CFF7C 000003C0
	buffer_load_dwordx4 v30, s[20:23], 0 offen offset:320 lds  // 000000003B48: E05D1140 8005001E
	s_add_i32 m0, m0, 0x3c0                                    // 000000003B50: 817CFF7C 000003C0
	buffer_load_dwordx4 v30, s[20:23], 0 offen offset:384 lds  // 000000003B58: E05D1180 8005001E
	s_add_i32 m0, m0, 0x3c0                                    // 000000003B60: 817CFF7C 000003C0
	buffer_load_dwordx4 v30, s[20:23], 0 offen offset:448 lds  // 000000003B68: E05D11C0 8005001E
	s_add_i32 m0, m0, 0x3c0                                    // 000000003B70: 817CFF7C 000003C0
	buffer_load_dwordx4 v30, s[20:23], 0 offen offset:512 lds  // 000000003B78: E05D1200 8005001E
	s_add_i32 m0, m0, 0x3c0                                    // 000000003B80: 817CFF7C 000003C0
	ds_read_b128 a[60:63], v22 offset:23552                    // 000000003B88: DBFE5C00 3C000016
	ds_read_b128 a[64:67], v22 offset:24576                    // 000000003B90: DBFE6000 40000016
	ds_read_b128 a[68:71], v22 offset:25600                    // 000000003B98: DBFE6400 44000016
	ds_read_b128 a[72:75], v22 offset:26624                    // 000000003BA0: DBFE6800 48000016
	ds_read_b128 a[80:83], v22 offset:27648                    // 000000003BA8: DBFE6C00 50000016
	ds_read_b128 a[84:87], v22 offset:28672                    // 000000003BB0: DBFE7000 54000016
	ds_read_b128 a[88:91], v22 offset:29696                    // 000000003BB8: DBFE7400 58000016
	ds_read_b128 a[92:95], v22 offset:30720                    // 000000003BC0: DBFE7800 5C000016
	ds_read_b128 a[96:99], v22 offset:31744                    // 000000003BC8: DBFE7C00 60000016
	ds_read_b128 a[100:103], v22 offset:32768                  // 000000003BD0: DBFE8000 64000016
	ds_read_b128 a[104:107], v22 offset:33792                  // 000000003BD8: DBFE8400 68000016
	ds_read_b128 a[108:111], v22 offset:34816                  // 000000003BE0: DBFE8800 6C000016
	ds_read_b128 a[112:115], v22 offset:35840                  // 000000003BE8: DBFE8C00 70000016
	v_add_u32_e32 v26, s73, v26                                // 000000003BF0: 68343449
	s_waitcnt lgkmcnt(4)                                       // 000000003BF4: BF8CC47F
	v_mfma_f32_16x16x128_f8f6f4 v[44:47], a[40:47], a[0:7], 0  // 000000003BF8: D3AD002C 1A020128
	ds_read_b64_tr_b8 a[120:121], v14                          // 000000003C00: DBC40000 7800000E
	ds_read_b64_tr_b8 a[122:123], v15                          // 000000003C08: DBC40000 7A00000F
	ds_read_b64_tr_b8 a[124:125], v14 offset:18432             // 000000003C10: DBC44800 7C00000E
	ds_read_b64_tr_b8 a[126:127], v15 offset:18432             // 000000003C18: DBC44800 7E00000F
	v_mfma_f32_16x16x128_f8f6f4 v[44:47], a[48:55], a[8:15], v[44:47]// 000000003C20: D3AD002C 1CB21130
	v_mfma_f32_16x16x128_f8f6f4 v[44:47], a[56:63], a[16:23], v[44:47]// 000000003C28: D3AD002C 1CB22138
	ds_read_b64_tr_b8 a[128:129], v16                          // 000000003C30: DBC40000 80000010
	ds_read_b64_tr_b8 a[130:131], v17                          // 000000003C38: DBC40000 82000011
	ds_read_b64_tr_b8 a[132:133], v16 offset:18432             // 000000003C40: DBC44800 84000010
	ds_read_b64_tr_b8 a[134:135], v17 offset:18432             // 000000003C48: DBC44800 86000011
	v_mfma_f32_16x16x128_f8f6f4 v[44:47], a[64:71], a[24:31], v[44:47]// 000000003C50: D3AD002C 1CB23140
	v_mfma_f32_16x16x128_f8f6f4 v[44:47], a[72:79], a[32:39], v[44:47]// 000000003C58: D3AD002C 1CB24148
	ds_read_b64_tr_b8 a[136:137], v14 offset:1024              // 000000003C60: DBC40400 8800000E
	ds_read_b64_tr_b8 a[138:139], v15 offset:1024              // 000000003C68: DBC40400 8A00000F
	ds_read_b64_tr_b8 a[140:141], v14 offset:19456             // 000000003C70: DBC44C00 8C00000E
	ds_read_b64_tr_b8 a[142:143], v15 offset:19456             // 000000003C78: DBC44C00 8E00000F
	v_mfma_f32_16x16x128_f8f6f4 v[48:51], a[80:87], a[0:7], 0  // 000000003C80: D3AD0030 1A020150
	v_mfma_f32_16x16x128_f8f6f4 v[48:51], a[88:95], a[8:15], v[48:51]// 000000003C88: D3AD0030 1CC21158
	ds_read_b64_tr_b8 a[144:145], v16 offset:1024              // 000000003C90: DBC40400 90000010
	ds_read_b64_tr_b8 a[146:147], v17 offset:1024              // 000000003C98: DBC40400 92000011
	ds_read_b64_tr_b8 a[148:149], v16 offset:19456             // 000000003CA0: DBC44C00 94000010
	ds_read_b64_tr_b8 a[150:151], v17 offset:19456             // 000000003CA8: DBC44C00 96000011
	v_mfma_f32_16x16x128_f8f6f4 v[48:51], a[96:103], a[16:23], v[48:51]// 000000003CB0: D3AD0030 1CC22160
	v_mfma_f32_16x16x128_f8f6f4 v[48:51], a[104:111], a[24:31], v[48:51]// 000000003CB8: D3AD0030 1CC23168
	ds_read_b64_tr_b8 a[152:153], v14 offset:2048              // 000000003CC0: DBC40800 9800000E
	ds_read_b64_tr_b8 a[154:155], v15 offset:2048              // 000000003CC8: DBC40800 9A00000F
	ds_read_b64_tr_b8 a[156:157], v14 offset:20480             // 000000003CD0: DBC45000 9C00000E
	ds_read_b64_tr_b8 a[158:159], v15 offset:20480             // 000000003CD8: DBC45000 9E00000F
	v_mfma_f32_16x16x128_f8f6f4 v[48:51], a[112:119], a[32:39], v[48:51]// 000000003CE0: D3AD0030 1CC24170
	ds_read_b64_tr_b8 a[160:161], v16 offset:2048              // 000000003CE8: DBC40800 A0000010
	ds_read_b64_tr_b8 a[162:163], v17 offset:2048              // 000000003CF0: DBC40800 A2000011
	ds_read_b64_tr_b8 a[164:165], v16 offset:20480             // 000000003CF8: DBC45000 A4000010
	ds_read_b64_tr_b8 a[166:167], v17 offset:20480             // 000000003D00: DBC45000 A6000011
	ds_read_b64_tr_b8 a[168:169], v14 offset:3072              // 000000003D08: DBC40C00 A800000E
	ds_read_b64_tr_b8 a[170:171], v15 offset:3072              // 000000003D10: DBC40C00 AA00000F
	ds_read_b64_tr_b8 a[172:173], v14 offset:21504             // 000000003D18: DBC45400 AC00000E
	ds_read_b64_tr_b8 a[174:175], v15 offset:21504             // 000000003D20: DBC45400 AE00000F
	ds_read_b64_tr_b8 a[176:177], v16 offset:3072              // 000000003D28: DBC40C00 B0000010
	ds_read_b64_tr_b8 a[178:179], v17 offset:3072              // 000000003D30: DBC40C00 B2000011
	ds_read_b64_tr_b8 a[180:181], v16 offset:21504             // 000000003D38: DBC45400 B4000010
	ds_read_b64_tr_b8 a[182:183], v17 offset:21504             // 000000003D40: DBC45400 B6000011
	s_cmp_le_i32 s83, s82                                      // 000000003D48: BF055253
	s_cbranch_scc1 label_1B00                                  // 000000003D4C: BF85006C
	v_mov_b32_e32 v27, s82                                     // 000000003D50: 7E360252
	v_add_i32 v27, s7, v27                                     // 000000003D54: D29C001B 00023607
	s_sub_u32 s56, s83, 63                                     // 000000003D5C: 80B8BF53
	v_lshrrev_b32_e32 v187, 4, v0                              // 000000003D60: 21760084
	v_mul_i32_i24_e32 v187, 4, v187                            // 000000003D64: 0D777684
	v_add_u32_e32 v187, s56, v187                              // 000000003D68: 69777638
	v_add_u32_e32 v188, 1, v187                                // 000000003D6C: 69797681
	v_add_u32_e32 v189, 2, v187                                // 000000003D70: 697B7682
	v_add_u32_e32 v190, 3, v187                                // 000000003D74: 697D7683
	v_mov_b32_e32 v28, 0xff800000                              // 000000003D78: 7E3802FF FF800000
	v_cmp_le_i32_e64 s[36:37], v187, v27                       // 000000003D80: D0C30024 000237BB
	v_add_u32_e32 v187, 16, v187                               // 000000003D88: 69777690
	s_nop 0                                                    // 000000003D8C: BF800000
	v_cndmask_b32_e64 v36, v28, v36, s[36:37]                  // 000000003D90: D1000024 0092491C
	v_cmp_le_i32_e64 s[36:37], v188, v27                       // 000000003D98: D0C30024 000237BC
	v_add_u32_e32 v188, 16, v188                               // 000000003DA0: 69797890
	s_nop 0                                                    // 000000003DA4: BF800000
	v_cndmask_b32_e64 v37, v28, v37, s[36:37]                  // 000000003DA8: D1000025 00924B1C
	v_cmp_le_i32_e64 s[36:37], v189, v27                       // 000000003DB0: D0C30024 000237BD
	v_add_u32_e32 v189, 16, v189                               // 000000003DB8: 697B7A90
	s_nop 0                                                    // 000000003DBC: BF800000
	v_cndmask_b32_e64 v38, v28, v38, s[36:37]                  // 000000003DC0: D1000026 00924D1C
	v_cmp_le_i32_e64 s[36:37], v190, v27                       // 000000003DC8: D0C30024 000237BE
	v_add_u32_e32 v190, 16, v190                               // 000000003DD0: 697D7C90
	s_nop 0                                                    // 000000003DD4: BF800000
	v_cndmask_b32_e64 v39, v28, v39, s[36:37]                  // 000000003DD8: D1000027 00924F1C
	v_cmp_le_i32_e64 s[36:37], v187, v27                       // 000000003DE0: D0C30024 000237BB
	v_add_u32_e32 v187, 16, v187                               // 000000003DE8: 69777690
	s_nop 0                                                    // 000000003DEC: BF800000
	v_cndmask_b32_e64 v40, v28, v40, s[36:37]                  // 000000003DF0: D1000028 0092511C
	v_cmp_le_i32_e64 s[36:37], v188, v27                       // 000000003DF8: D0C30024 000237BC
	v_add_u32_e32 v188, 16, v188                               // 000000003E00: 69797890
	s_nop 0                                                    // 000000003E04: BF800000
	v_cndmask_b32_e64 v41, v28, v41, s[36:37]                  // 000000003E08: D1000029 0092531C
	v_cmp_le_i32_e64 s[36:37], v189, v27                       // 000000003E10: D0C30024 000237BD
	v_add_u32_e32 v189, 16, v189                               // 000000003E18: 697B7A90
	s_nop 0                                                    // 000000003E1C: BF800000
	v_cndmask_b32_e64 v42, v28, v42, s[36:37]                  // 000000003E20: D100002A 0092551C
	v_cmp_le_i32_e64 s[36:37], v190, v27                       // 000000003E28: D0C30024 000237BE
	v_add_u32_e32 v190, 16, v190                               // 000000003E30: 697D7C90
	s_nop 0                                                    // 000000003E34: BF800000
	v_cndmask_b32_e64 v43, v28, v43, s[36:37]                  // 000000003E38: D100002B 0092571C
	v_cmp_le_i32_e64 s[36:37], v187, v27                       // 000000003E40: D0C30024 000237BB
	v_add_u32_e32 v187, 16, v187                               // 000000003E48: 69777690
	s_nop 0                                                    // 000000003E4C: BF800000
	v_cndmask_b32_e64 v44, v28, v44, s[36:37]                  // 000000003E50: D100002C 0092591C
	v_cmp_le_i32_e64 s[36:37], v188, v27                       // 000000003E58: D0C30024 000237BC
	v_add_u32_e32 v188, 16, v188                               // 000000003E60: 69797890
	s_nop 0                                                    // 000000003E64: BF800000
	v_cndmask_b32_e64 v45, v28, v45, s[36:37]                  // 000000003E68: D100002D 00925B1C
	v_cmp_le_i32_e64 s[36:37], v189, v27                       // 000000003E70: D0C30024 000237BD
	v_add_u32_e32 v189, 16, v189                               // 000000003E78: 697B7A90
	s_nop 0                                                    // 000000003E7C: BF800000
	v_cndmask_b32_e64 v46, v28, v46, s[36:37]                  // 000000003E80: D100002E 00925D1C
	v_cmp_le_i32_e64 s[36:37], v190, v27                       // 000000003E88: D0C30024 000237BE
	v_add_u32_e32 v190, 16, v190                               // 000000003E90: 697D7C90
	s_nop 0                                                    // 000000003E94: BF800000
	v_cndmask_b32_e64 v47, v28, v47, s[36:37]                  // 000000003E98: D100002F 00925F1C
	v_cmp_le_i32_e64 s[36:37], v187, v27                       // 000000003EA0: D0C30024 000237BB
	v_add_u32_e32 v187, 16, v187                               // 000000003EA8: 69777690
	s_nop 0                                                    // 000000003EAC: BF800000
	v_cndmask_b32_e64 v48, v28, v48, s[36:37]                  // 000000003EB0: D1000030 0092611C
	v_cmp_le_i32_e64 s[36:37], v188, v27                       // 000000003EB8: D0C30024 000237BC
	v_add_u32_e32 v188, 16, v188                               // 000000003EC0: 69797890
	s_nop 0                                                    // 000000003EC4: BF800000
	v_cndmask_b32_e64 v49, v28, v49, s[36:37]                  // 000000003EC8: D1000031 0092631C
	v_cmp_le_i32_e64 s[36:37], v189, v27                       // 000000003ED0: D0C30024 000237BD
	v_add_u32_e32 v189, 16, v189                               // 000000003ED8: 697B7A90
	s_nop 0                                                    // 000000003EDC: BF800000
	v_cndmask_b32_e64 v50, v28, v50, s[36:37]                  // 000000003EE0: D1000032 0092651C
	v_cmp_le_i32_e64 s[36:37], v190, v27                       // 000000003EE8: D0C30024 000237BE
	v_add_u32_e32 v190, 16, v190                               // 000000003EF0: 697D7C90
	s_nop 0                                                    // 000000003EF4: BF800000
	v_cndmask_b32_e64 v51, v28, v51, s[36:37]                  // 000000003EF8: D1000033 0092671C

0000000000003f00 <label_1B00>:
	s_add_u32 s83, s84, s83                                    // 000000003F00: 80535354
	s_nop 2                                                    // 000000003F04: BF800002
	v_mov_b32_e32 v28, v36                                     // 000000003F08: 7E380324
	v_max3_f32 v28, v36, v37, v28                              // 000000003F0C: D1D3001C 04724B24
	v_max3_f32 v28, v38, v39, v28                              // 000000003F14: D1D3001C 04724F26
	v_max3_f32 v28, v40, v41, v28                              // 000000003F1C: D1D3001C 04725328
	v_max3_f32 v28, v42, v43, v28                              // 000000003F24: D1D3001C 0472572A
	v_max3_f32 v28, v44, v45, v28                              // 000000003F2C: D1D3001C 04725B2C
	v_max3_f32 v28, v46, v47, v28                              // 000000003F34: D1D3001C 04725F2E
	v_max3_f32 v28, v48, v49, v28                              // 000000003F3C: D1D3001C 04726330
	v_max3_f32 v28, v50, v51, v28                              // 000000003F44: D1D3001C 04726732
	v_mov_b32_e32 v27, v28                                     // 000000003F4C: 7E36031C
	v_mov_b32_e32 v28, v28                                     // 000000003F50: 7E38031C
	s_nop 1                                                    // 000000003F54: BF800001
	v_permlane16_swap_b32_e32 v27, v28                         // 000000003F58: 7E36B31C
	v_mov_b32_e32 v30, v27                                     // 000000003F5C: 7E3C031B
	v_mov_b32_e32 v29, v28                                     // 000000003F60: 7E3A031C
	s_nop 1                                                    // 000000003F64: BF800001
	v_permlane32_swap_b32_e32 v27, v28                         // 000000003F68: 7E36B51C
	v_permlane32_swap_b32_e32 v29, v30                         // 000000003F6C: 7E3AB51E
	v_max3_f32 v28, v27, v28, v28                              // 000000003F70: D1D3001C 0472391B
	v_max3_f32 v28, v29, v30, v28                              // 000000003F78: D1D3001C 04723D1D
	v_mov_b32_e32 v27, 0xff800000                              // 000000003F80: 7E3602FF FF800000
	v_cmp_eq_u32_e64 s[36:37], v27, v2                         // 000000003F88: D0CA0024 0002051B
	v_max_f32_e32 v28, v28, v2                                 // 000000003F90: 1638051C
	v_sub_f32_e32 v18, v2, v28                                 // 000000003F94: 04243902
	v_cndmask_b32_e64 v18, v18, 0, s[36:37]                    // 000000003F98: D1000012 00910112
	v_mov_b32_e32 v2, v28                                      // 000000003FA0: 7E04031C
	v_mul_f32_e32 v28, s5, v28                                 // 000000003FA4: 0A383805
	v_mul_f32_e32 v18, s5, v18                                 // 000000003FA8: 0A242405
	v_exp_f32_e32 v18, v18                                     // 000000003FAC: 7E244112
	v_fma_f32 v36, v36, s5, -v28                               // 000000003FB0: D1CB0024 84700B24
	v_fma_f32 v37, v37, s5, -v28                               // 000000003FB8: D1CB0025 84700B25
	v_fma_f32 v38, v38, s5, -v28                               // 000000003FC0: D1CB0026 84700B26
	v_fma_f32 v39, v39, s5, -v28                               // 000000003FC8: D1CB0027 84700B27
	v_fma_f32 v40, v40, s5, -v28                               // 000000003FD0: D1CB0028 84700B28
	v_fma_f32 v41, v41, s5, -v28                               // 000000003FD8: D1CB0029 84700B29
	v_fma_f32 v42, v42, s5, -v28                               // 000000003FE0: D1CB002A 84700B2A
	v_fma_f32 v43, v43, s5, -v28                               // 000000003FE8: D1CB002B 84700B2B
	v_fma_f32 v44, v44, s5, -v28                               // 000000003FF0: D1CB002C 84700B2C
	v_fma_f32 v45, v45, s5, -v28                               // 000000003FF8: D1CB002D 84700B2D
	v_fma_f32 v46, v46, s5, -v28                               // 000000004000: D1CB002E 84700B2E
	v_fma_f32 v47, v47, s5, -v28                               // 000000004008: D1CB002F 84700B2F
	v_fma_f32 v48, v48, s5, -v28                               // 000000004010: D1CB0030 84700B30
	v_fma_f32 v49, v49, s5, -v28                               // 000000004018: D1CB0031 84700B31
	v_fma_f32 v50, v50, s5, -v28                               // 000000004020: D1CB0032 84700B32
	v_fma_f32 v51, v51, s5, -v28                               // 000000004028: D1CB0033 84700B33
	v_exp_f32_e32 v36, v36                                     // 000000004030: 7E484124
	v_exp_f32_e32 v37, v37                                     // 000000004034: 7E4A4125
	v_exp_f32_e32 v38, v38                                     // 000000004038: 7E4C4126
	v_exp_f32_e32 v39, v39                                     // 00000000403C: 7E4E4127
	v_exp_f32_e32 v40, v40                                     // 000000004040: 7E504128
	v_exp_f32_e32 v41, v41                                     // 000000004044: 7E524129
	v_exp_f32_e32 v42, v42                                     // 000000004048: 7E54412A
	v_exp_f32_e32 v43, v43                                     // 00000000404C: 7E56412B
	v_exp_f32_e32 v44, v44                                     // 000000004050: 7E58412C
	v_exp_f32_e32 v45, v45                                     // 000000004054: 7E5A412D
	v_exp_f32_e32 v46, v46                                     // 000000004058: 7E5C412E
	v_exp_f32_e32 v47, v47                                     // 00000000405C: 7E5E412F
	v_exp_f32_e32 v48, v48                                     // 000000004060: 7E604130
	v_exp_f32_e32 v49, v49                                     // 000000004064: 7E624131
	v_exp_f32_e32 v50, v50                                     // 000000004068: 7E644132
	v_exp_f32_e32 v51, v51                                     // 00000000406C: 7E664133
	v_mul_f32_e32 v4, v18, v4                                  // 000000004070: 0A080912
	v_mov_b32_e32 v27, v36                                     // 000000004074: 7E360324
	v_add_f32_e32 v27, v37, v27                                // 000000004078: 02363725
	v_add_f32_e32 v27, v38, v27                                // 00000000407C: 02363726
	v_add_f32_e32 v27, v39, v27                                // 000000004080: 02363727
	v_add_f32_e32 v27, v40, v27                                // 000000004084: 02363728
	v_add_f32_e32 v27, v41, v27                                // 000000004088: 02363729
	v_add_f32_e32 v27, v42, v27                                // 00000000408C: 0236372A
	v_add_f32_e32 v27, v43, v27                                // 000000004090: 0236372B
	v_add_f32_e32 v27, v44, v27                                // 000000004094: 0236372C
	v_add_f32_e32 v27, v45, v27                                // 000000004098: 0236372D
	v_add_f32_e32 v27, v46, v27                                // 00000000409C: 0236372E
	v_add_f32_e32 v27, v47, v27                                // 0000000040A0: 0236372F
	v_add_f32_e32 v27, v48, v27                                // 0000000040A4: 02363730
	v_add_f32_e32 v27, v49, v27                                // 0000000040A8: 02363731
	v_add_f32_e32 v27, v50, v27                                // 0000000040AC: 02363732
	v_add_f32_e32 v27, v51, v27                                // 0000000040B0: 02363733
	v_add_f32_e32 v4, v27, v4                                  // 0000000040B4: 0208091B
	v_cvt_pk_fp8_f32 v36, v36, v37                             // 0000000040B8: D2A20024 00024B24
	v_cvt_pk_fp8_f32 v36, v38, v39 op_sel:[0,0,1]              // 0000000040C0: D2A24024 00024F26
	v_cvt_pk_fp8_f32 v37, v40, v41                             // 0000000040C8: D2A20025 00025328
	v_cvt_pk_fp8_f32 v37, v42, v43 op_sel:[0,0,1]              // 0000000040D0: D2A24025 0002572A
	v_cvt_pk_fp8_f32 v38, v44, v45                             // 0000000040D8: D2A20026 00025B2C
	v_cvt_pk_fp8_f32 v38, v46, v47 op_sel:[0,0,1]              // 0000000040E0: D2A24026 00025F2E
	v_cvt_pk_fp8_f32 v39, v48, v49                             // 0000000040E8: D2A20027 00026330
	v_cvt_pk_fp8_f32 v39, v50, v51 op_sel:[0,0,1]              // 0000000040F0: D2A24027 00026732
	s_nop 0                                                    // 0000000040F8: BF800000
	v_permlane16_swap_b32_e32 v36, v37                         // 0000000040FC: 7E48B325
	v_permlane16_swap_b32_e32 v38, v39                         // 000000004100: 7E4CB327
	s_nop 0                                                    // 000000004104: BF800000
	v_permlane32_swap_b32_e32 v36, v38                         // 000000004108: 7E48B526
	v_permlane32_swap_b32_e32 v37, v39                         // 00000000410C: 7E4AB527
	ds_write_b128 v32, v[36:39]                                // 000000004110: D9BE0000 00002420
	s_waitcnt lgkmcnt(0)                                       // 000000004118: BF8CC07F
	s_barrier                                                  // 00000000411C: BF8A0000
	ds_read_b128 v[36:39], v33                                 // 000000004120: D9FE0000 24000021
	ds_read_b128 v[40:43], v33 offset:1024                     // 000000004128: D9FE0400 28000021
	s_waitcnt lgkmcnt(0)                                       // 000000004130: BF8CC07F
	v_permlane16_swap_b32_e32 v36, v40                         // 000000004134: 7E48B328
	v_permlane16_swap_b32_e32 v37, v41                         // 000000004138: 7E4AB329
	v_permlane16_swap_b32_e32 v38, v42                         // 00000000413C: 7E4CB32A
	v_permlane16_swap_b32_e32 v39, v43                         // 000000004140: 7E4EB32B
	v_permlane32_swap_b32_e32 v36, v40                         // 000000004144: 7E48B528
	v_permlane32_swap_b32_e32 v37, v41                         // 000000004148: 7E4AB529
	v_permlane32_swap_b32_e32 v38, v42                         // 00000000414C: 7E4CB52A
	v_permlane32_swap_b32_e32 v39, v43                         // 000000004150: 7E4EB52B
	ds_write_b32 v34, v18                                      // 000000004154: D81A0000 00001222
	s_waitcnt lgkmcnt(0)                                       // 00000000415C: BF8CC07F
	s_barrier                                                  // 000000004160: BF8A0000
	ds_read_b32 v27, v35                                       // 000000004164: D86C0000 1B000023
	s_waitcnt lgkmcnt(0)                                       // 00000000416C: BF8CC07F
	v_mul_f32_e32 v56, v27, v56                                // 000000004170: 0A70711B
	v_mul_f32_e32 v57, v27, v57                                // 000000004174: 0A72731B
	v_mul_f32_e32 v58, v27, v58                                // 000000004178: 0A74751B
	v_mul_f32_e32 v59, v27, v59                                // 00000000417C: 0A76771B
	v_mul_f32_e32 v60, v27, v60                                // 000000004180: 0A78791B
	v_mul_f32_e32 v61, v27, v61                                // 000000004184: 0A7A7B1B
	v_mul_f32_e32 v62, v27, v62                                // 000000004188: 0A7C7D1B
	v_mul_f32_e32 v63, v27, v63                                // 00000000418C: 0A7E7F1B
	v_mul_f32_e32 v64, v27, v64                                // 000000004190: 0A80811B
	v_mul_f32_e32 v65, v27, v65                                // 000000004194: 0A82831B
	v_mul_f32_e32 v66, v27, v66                                // 000000004198: 0A84851B
	v_mul_f32_e32 v67, v27, v67                                // 00000000419C: 0A86871B
	v_mul_f32_e32 v68, v27, v68                                // 0000000041A0: 0A88891B
	v_mul_f32_e32 v69, v27, v69                                // 0000000041A4: 0A8A8B1B
	v_mul_f32_e32 v70, v27, v70                                // 0000000041A8: 0A8C8D1B
	v_mul_f32_e32 v71, v27, v71                                // 0000000041AC: 0A8E8F1B
	v_mul_f32_e32 v72, v27, v72                                // 0000000041B0: 0A90911B
	v_mul_f32_e32 v73, v27, v73                                // 0000000041B4: 0A92931B
	v_mul_f32_e32 v74, v27, v74                                // 0000000041B8: 0A94951B
	v_mul_f32_e32 v75, v27, v75                                // 0000000041BC: 0A96971B
	v_mul_f32_e32 v76, v27, v76                                // 0000000041C0: 0A98991B
	v_mul_f32_e32 v77, v27, v77                                // 0000000041C4: 0A9A9B1B
	v_mul_f32_e32 v78, v27, v78                                // 0000000041C8: 0A9C9D1B
	v_mul_f32_e32 v79, v27, v79                                // 0000000041CC: 0A9E9F1B
	v_mul_f32_e32 v80, v27, v80                                // 0000000041D0: 0AA0A11B
	v_mul_f32_e32 v81, v27, v81                                // 0000000041D4: 0AA2A31B
	v_mul_f32_e32 v82, v27, v82                                // 0000000041D8: 0AA4A51B
	v_mul_f32_e32 v83, v27, v83                                // 0000000041DC: 0AA6A71B
	v_mul_f32_e32 v84, v27, v84                                // 0000000041E0: 0AA8A91B
	v_mul_f32_e32 v85, v27, v85                                // 0000000041E4: 0AAAAB1B
	v_mul_f32_e32 v86, v27, v86                                // 0000000041E8: 0AACAD1B
	v_mul_f32_e32 v87, v27, v87                                // 0000000041EC: 0AAEAF1B
	v_mul_f32_e32 v88, v27, v88                                // 0000000041F0: 0AB0B11B
	v_mul_f32_e32 v89, v27, v89                                // 0000000041F4: 0AB2B31B
	v_mul_f32_e32 v90, v27, v90                                // 0000000041F8: 0AB4B51B
	v_mul_f32_e32 v91, v27, v91                                // 0000000041FC: 0AB6B71B
	v_mul_f32_e32 v92, v27, v92                                // 000000004200: 0AB8B91B
	v_mul_f32_e32 v93, v27, v93                                // 000000004204: 0ABABB1B
	v_mul_f32_e32 v94, v27, v94                                // 000000004208: 0ABCBD1B
	v_mul_f32_e32 v95, v27, v95                                // 00000000420C: 0ABEBF1B
	v_mul_f32_e32 v96, v27, v96                                // 000000004210: 0AC0C11B
	v_mul_f32_e32 v97, v27, v97                                // 000000004214: 0AC2C31B
	v_mul_f32_e32 v98, v27, v98                                // 000000004218: 0AC4C51B
	v_mul_f32_e32 v99, v27, v99                                // 00000000421C: 0AC6C71B
	v_mul_f32_e32 v100, v27, v100                              // 000000004220: 0AC8C91B
	v_mul_f32_e32 v101, v27, v101                              // 000000004224: 0ACACB1B
	v_mul_f32_e32 v102, v27, v102                              // 000000004228: 0ACCCD1B
	v_mul_f32_e32 v103, v27, v103                              // 00000000422C: 0ACECF1B
	v_mul_f32_e32 v104, v27, v104                              // 000000004230: 0AD0D11B
	v_mul_f32_e32 v105, v27, v105                              // 000000004234: 0AD2D31B
	v_mul_f32_e32 v106, v27, v106                              // 000000004238: 0AD4D51B
	v_mul_f32_e32 v107, v27, v107                              // 00000000423C: 0AD6D71B
	v_mul_f32_e32 v108, v27, v108                              // 000000004240: 0AD8D91B
	v_mul_f32_e32 v109, v27, v109                              // 000000004244: 0ADADB1B
	v_mul_f32_e32 v110, v27, v110                              // 000000004248: 0ADCDD1B
	v_mul_f32_e32 v111, v27, v111                              // 00000000424C: 0ADEDF1B
	v_mul_f32_e32 v112, v27, v112                              // 000000004250: 0AE0E11B
	v_mul_f32_e32 v113, v27, v113                              // 000000004254: 0AE2E31B
	v_mul_f32_e32 v114, v27, v114                              // 000000004258: 0AE4E51B
	v_mul_f32_e32 v115, v27, v115                              // 00000000425C: 0AE6E71B
	v_mul_f32_e32 v116, v27, v116                              // 000000004260: 0AE8E91B
	v_mul_f32_e32 v117, v27, v117                              // 000000004264: 0AEAEB1B
	v_mul_f32_e32 v118, v27, v118                              // 000000004268: 0AECED1B
	v_mul_f32_e32 v119, v27, v119                              // 00000000426C: 0AEEEF1B
	v_mul_f32_e32 v120, v27, v120                              // 000000004270: 0AF0F11B
	v_mul_f32_e32 v121, v27, v121                              // 000000004274: 0AF2F31B
	v_mul_f32_e32 v122, v27, v122                              // 000000004278: 0AF4F51B
	v_mul_f32_e32 v123, v27, v123                              // 00000000427C: 0AF6F71B
	v_mul_f32_e32 v124, v27, v124                              // 000000004280: 0AF8F91B
	v_mul_f32_e32 v125, v27, v125                              // 000000004284: 0AFAFB1B
	v_mul_f32_e32 v126, v27, v126                              // 000000004288: 0AFCFD1B
	v_mul_f32_e32 v127, v27, v127                              // 00000000428C: 0AFEFF1B
	v_mul_f32_e32 v128, v27, v128                              // 000000004290: 0B01011B
	v_mul_f32_e32 v129, v27, v129                              // 000000004294: 0B03031B
	v_mul_f32_e32 v130, v27, v130                              // 000000004298: 0B05051B
	v_mul_f32_e32 v131, v27, v131                              // 00000000429C: 0B07071B
	v_mul_f32_e32 v132, v27, v132                              // 0000000042A0: 0B09091B
	v_mul_f32_e32 v133, v27, v133                              // 0000000042A4: 0B0B0B1B
	v_mul_f32_e32 v134, v27, v134                              // 0000000042A8: 0B0D0D1B
	v_mul_f32_e32 v135, v27, v135                              // 0000000042AC: 0B0F0F1B
	v_mul_f32_e32 v136, v27, v136                              // 0000000042B0: 0B11111B
	v_mul_f32_e32 v137, v27, v137                              // 0000000042B4: 0B13131B
	v_mul_f32_e32 v138, v27, v138                              // 0000000042B8: 0B15151B
	v_mul_f32_e32 v139, v27, v139                              // 0000000042BC: 0B17171B
	v_mul_f32_e32 v140, v27, v140                              // 0000000042C0: 0B19191B
	v_mul_f32_e32 v141, v27, v141                              // 0000000042C4: 0B1B1B1B
	v_mul_f32_e32 v142, v27, v142                              // 0000000042C8: 0B1D1D1B
	v_mul_f32_e32 v143, v27, v143                              // 0000000042CC: 0B1F1F1B
	v_mul_f32_e32 v144, v27, v144                              // 0000000042D0: 0B21211B
	v_mul_f32_e32 v145, v27, v145                              // 0000000042D4: 0B23231B
	v_mul_f32_e32 v146, v27, v146                              // 0000000042D8: 0B25251B
	v_mul_f32_e32 v147, v27, v147                              // 0000000042DC: 0B27271B
	v_mul_f32_e32 v148, v27, v148                              // 0000000042E0: 0B29291B
	v_mul_f32_e32 v149, v27, v149                              // 0000000042E4: 0B2B2B1B
	v_mul_f32_e32 v150, v27, v150                              // 0000000042E8: 0B2D2D1B
	v_mul_f32_e32 v151, v27, v151                              // 0000000042EC: 0B2F2F1B
	v_mul_f32_e32 v152, v27, v152                              // 0000000042F0: 0B31311B
	v_mul_f32_e32 v153, v27, v153                              // 0000000042F4: 0B33331B
	v_mul_f32_e32 v154, v27, v154                              // 0000000042F8: 0B35351B
	v_mul_f32_e32 v155, v27, v155                              // 0000000042FC: 0B37371B
	v_mul_f32_e32 v156, v27, v156                              // 000000004300: 0B39391B
	v_mul_f32_e32 v157, v27, v157                              // 000000004304: 0B3B3B1B
	v_mul_f32_e32 v158, v27, v158                              // 000000004308: 0B3D3D1B
	v_mul_f32_e32 v159, v27, v159                              // 00000000430C: 0B3F3F1B
	v_mul_f32_e32 v160, v27, v160                              // 000000004310: 0B41411B
	v_mul_f32_e32 v161, v27, v161                              // 000000004314: 0B43431B
	v_mul_f32_e32 v162, v27, v162                              // 000000004318: 0B45451B
	v_mul_f32_e32 v163, v27, v163                              // 00000000431C: 0B47471B
	v_mul_f32_e32 v164, v27, v164                              // 000000004320: 0B49491B
	v_mul_f32_e32 v165, v27, v165                              // 000000004324: 0B4B4B1B
	v_mul_f32_e32 v166, v27, v166                              // 000000004328: 0B4D4D1B
	v_mul_f32_e32 v167, v27, v167                              // 00000000432C: 0B4F4F1B
	v_mul_f32_e32 v168, v27, v168                              // 000000004330: 0B51511B
	v_mul_f32_e32 v169, v27, v169                              // 000000004334: 0B53531B
	v_mul_f32_e32 v170, v27, v170                              // 000000004338: 0B55551B
	v_mul_f32_e32 v171, v27, v171                              // 00000000433C: 0B57571B
	v_mul_f32_e32 v172, v27, v172                              // 000000004340: 0B59591B
	v_mul_f32_e32 v173, v27, v173                              // 000000004344: 0B5B5B1B
	v_mul_f32_e32 v174, v27, v174                              // 000000004348: 0B5D5D1B
	v_mul_f32_e32 v175, v27, v175                              // 00000000434C: 0B5F5F1B
	v_mul_f32_e32 v176, v27, v176                              // 000000004350: 0B61611B
	v_mul_f32_e32 v177, v27, v177                              // 000000004354: 0B63631B
	v_mul_f32_e32 v178, v27, v178                              // 000000004358: 0B65651B
	v_mul_f32_e32 v179, v27, v179                              // 00000000435C: 0B67671B
	v_mul_f32_e32 v180, v27, v180                              // 000000004360: 0B69691B
	v_mul_f32_e32 v181, v27, v181                              // 000000004364: 0B6B6B1B
	v_mul_f32_e32 v182, v27, v182                              // 000000004368: 0B6D6D1B
	v_mul_f32_e32 v183, v27, v183                              // 00000000436C: 0B6F6F1B
	s_waitcnt lgkmcnt(0)                                       // 000000004370: BF8CC07F
	v_mfma_f32_32x32x64_f8f6f4 v[56:71], a[120:127], v[36:43], v[56:71]// 000000004374: D3AE0038 0CE24978
	v_mfma_f32_32x32x64_f8f6f4 v[72:87], a[128:135], v[36:43], v[72:87]// 00000000437C: D3AE0048 0D224980
	v_mfma_f32_32x32x64_f8f6f4 v[88:103], a[136:143], v[36:43], v[88:103]// 000000004384: D3AE0058 0D624988
	v_mfma_f32_32x32x64_f8f6f4 v[104:119], a[144:151], v[36:43], v[104:119]// 00000000438C: D3AE0068 0DA24990
	v_mfma_f32_32x32x64_f8f6f4 v[120:135], a[152:159], v[36:43], v[120:135]// 000000004394: D3AE0078 0DE24998
	v_mfma_f32_32x32x64_f8f6f4 v[136:151], a[160:167], v[36:43], v[136:151]// 00000000439C: D3AE0088 0E2249A0
	v_mfma_f32_32x32x64_f8f6f4 v[152:167], a[168:175], v[36:43], v[152:167]// 0000000043A4: D3AE0098 0E6249A8
	v_mfma_f32_32x32x64_f8f6f4 v[168:183], a[176:183], v[36:43], v[168:183]// 0000000043AC: D3AE00A8 0EA249B0
	s_waitcnt lgkmcnt(0)                                       // 0000000043B4: BF8CC07F
	s_waitcnt vmcnt(10)                                        // 0000000043B8: BF8C0F7A
	s_barrier                                                  // 0000000043BC: BF8A0000
	ds_read_b128 a[40:43], v20                                 // 0000000043C0: DBFE0000 28000014
	ds_read_b128 a[44:47], v20 offset:1024                     // 0000000043C8: DBFE0400 2C000014
	ds_read_b128 a[48:51], v20 offset:2048                     // 0000000043D0: DBFE0800 30000014
	ds_read_b128 a[52:55], v20 offset:3072                     // 0000000043D8: DBFE0C00 34000014
	ds_read_b128 a[56:59], v20 offset:4096                     // 0000000043E0: DBFE1000 38000014
	ds_read_b128 a[60:63], v20 offset:5120                     // 0000000043E8: DBFE1400 3C000014
	ds_read_b128 a[64:67], v20 offset:6144                     // 0000000043F0: DBFE1800 40000014
	ds_read_b128 a[68:71], v20 offset:7168                     // 0000000043F8: DBFE1C00 44000014
	ds_read_b128 a[72:75], v20 offset:8192                     // 000000004400: DBFE2000 48000014
	ds_read_b128 a[80:83], v20 offset:9216                     // 000000004408: DBFE2400 50000014
	ds_read_b128 a[84:87], v20 offset:10240                    // 000000004410: DBFE2800 54000014
	ds_read_b128 a[88:91], v20 offset:11264                    // 000000004418: DBFE2C00 58000014
	ds_read_b128 a[92:95], v20 offset:12288                    // 000000004420: DBFE3000 5C000014
	ds_read_b128 a[96:99], v20 offset:13312                    // 000000004428: DBFE3400 60000014
	ds_read_b128 a[100:103], v20 offset:14336                  // 000000004430: DBFE3800 64000014
	ds_read_b128 a[104:107], v20 offset:15360                  // 000000004438: DBFE3C00 68000014
	ds_read_b128 a[108:111], v20 offset:16384                  // 000000004440: DBFE4000 6C000014
	ds_read_b128 a[112:115], v20 offset:17408                  // 000000004448: DBFE4400 70000014
	s_addk_i32 s70, 0x1                                        // 000000004450: B7460001
	s_cmp_lt_i32 s70, s71                                      // 000000004454: BF044746
	s_cbranch_scc0 label_2A68                                  // 000000004458: BF840283
	s_waitcnt lgkmcnt(4)                                       // 00000000445C: BF8CC47F
	v_mfma_f32_16x16x128_f8f6f4 v[36:39], a[40:47], a[0:7], 0  // 000000004460: D3AD0024 1A020128
	v_mul_u32_u24_e64 v30, v24, s68                            // 000000004468: D108001E 00008918
	v_add_u32_e32 v30, v30, v1                                 // 000000004470: 683C031E
	buffer_load_dword v23, v26, s[24:27], 0 offen              // 000000004474: E0501000 8006171A
	ds_read_b128 a[40:43], v20 offset:18432                    // 00000000447C: DBFE4800 28000014
	v_mfma_f32_16x16x128_f8f6f4 v[36:39], a[48:55], a[8:15], v[36:39]// 000000004484: D3AD0024 1C921130
	s_mov_b32 s56, 0x1d000                                     // 00000000448C: BEB800FF 0001D000
	s_mul_i32 s57, s7, 0x2400                                  // 000000004494: 9239FF07 00002400
	s_add_u32 m0, s56, s57                                     // 00000000449C: 807C3938
	buffer_load_dwordx4 v30, s[20:23], 0 offen lds             // 0000000044A0: E05D1000 8005001E
	s_add_i32 m0, m0, 0x3c0                                    // 0000000044A8: 817CFF7C 000003C0
	v_mfma_f32_16x16x128_f8f6f4 v[36:39], a[56:63], a[16:23], v[36:39]// 0000000044B0: D3AD0024 1C922138
	ds_read_b128 a[44:47], v20 offset:19456                    // 0000000044B8: DBFE4C00 2C000014
	v_mfma_f32_16x16x128_f8f6f4 v[36:39], a[64:71], a[24:31], v[36:39]// 0000000044C0: D3AD0024 1C923140
	buffer_load_dwordx4 v30, s[20:23], 0 offen offset:64 lds   // 0000000044C8: E05D1040 8005001E
	s_add_i32 m0, m0, 0x3c0                                    // 0000000044D0: 817CFF7C 000003C0
	v_mfma_f32_16x16x128_f8f6f4 v[36:39], a[72:79], a[32:39], v[36:39]// 0000000044D8: D3AD0024 1C924148
	ds_read_b128 a[48:51], v20 offset:20480                    // 0000000044E0: DBFE5000 30000014
	v_mfma_f32_16x16x128_f8f6f4 v[40:43], a[80:87], a[0:7], 0  // 0000000044E8: D3AD0028 1A020150
	buffer_load_dwordx4 v30, s[20:23], 0 offen offset:128 lds  // 0000000044F0: E05D1080 8005001E
	s_add_i32 m0, m0, 0x3c0                                    // 0000000044F8: 817CFF7C 000003C0
	v_mfma_f32_16x16x128_f8f6f4 v[40:43], a[88:95], a[8:15], v[40:43]// 000000004500: D3AD0028 1CA21158
	ds_read_b128 a[52:55], v20 offset:21504                    // 000000004508: DBFE5400 34000014
	v_mfma_f32_16x16x128_f8f6f4 v[40:43], a[96:103], a[16:23], v[40:43]// 000000004510: D3AD0028 1CA22160
	buffer_load_dwordx4 v30, s[20:23], 0 offen offset:192 lds  // 000000004518: E05D10C0 8005001E
	s_add_i32 m0, m0, 0x3c0                                    // 000000004520: 817CFF7C 000003C0
	v_mfma_f32_16x16x128_f8f6f4 v[40:43], a[104:111], a[24:31], v[40:43]// 000000004528: D3AD0028 1CA23168
	ds_read_b128 a[56:59], v20 offset:22528                    // 000000004530: DBFE5800 38000014
	v_mfma_f32_16x16x128_f8f6f4 v[40:43], a[112:119], a[32:39], v[40:43]// 000000004538: D3AD0028 1CA24170
	buffer_load_dwordx4 v30, s[20:23], 0 offen offset:256 lds  // 000000004540: E05D1100 8005001E
	s_add_i32 m0, m0, 0x3c0                                    // 000000004548: 817CFF7C 000003C0
	buffer_load_dwordx4 v30, s[20:23], 0 offen offset:320 lds  // 000000004550: E05D1140 8005001E
	s_add_i32 m0, m0, 0x3c0                                    // 000000004558: 817CFF7C 000003C0
	buffer_load_dwordx4 v30, s[20:23], 0 offen offset:384 lds  // 000000004560: E05D1180 8005001E
	s_add_i32 m0, m0, 0x3c0                                    // 000000004568: 817CFF7C 000003C0
	buffer_load_dwordx4 v30, s[20:23], 0 offen offset:448 lds  // 000000004570: E05D11C0 8005001E
	s_add_i32 m0, m0, 0x3c0                                    // 000000004578: 817CFF7C 000003C0
	buffer_load_dwordx4 v30, s[20:23], 0 offen offset:512 lds  // 000000004580: E05D1200 8005001E
	s_add_i32 m0, m0, 0x3c0                                    // 000000004588: 817CFF7C 000003C0
	ds_read_b128 a[60:63], v20 offset:23552                    // 000000004590: DBFE5C00 3C000014
	ds_read_b128 a[64:67], v20 offset:24576                    // 000000004598: DBFE6000 40000014
	ds_read_b128 a[68:71], v20 offset:25600                    // 0000000045A0: DBFE6400 44000014
	ds_read_b128 a[72:75], v20 offset:26624                    // 0000000045A8: DBFE6800 48000014
	ds_read_b128 a[80:83], v20 offset:27648                    // 0000000045B0: DBFE6C00 50000014
	ds_read_b128 a[84:87], v20 offset:28672                    // 0000000045B8: DBFE7000 54000014
	ds_read_b128 a[88:91], v20 offset:29696                    // 0000000045C0: DBFE7400 58000014
	ds_read_b128 a[92:95], v20 offset:30720                    // 0000000045C8: DBFE7800 5C000014
	ds_read_b128 a[96:99], v20 offset:31744                    // 0000000045D0: DBFE7C00 60000014
	ds_read_b128 a[100:103], v20 offset:32768                  // 0000000045D8: DBFE8000 64000014
	ds_read_b128 a[104:107], v20 offset:33792                  // 0000000045E0: DBFE8400 68000014
	ds_read_b128 a[108:111], v20 offset:34816                  // 0000000045E8: DBFE8800 6C000014
	ds_read_b128 a[112:115], v20 offset:35840                  // 0000000045F0: DBFE8C00 70000014
	v_add_u32_e32 v26, s73, v26                                // 0000000045F8: 68343449
	s_waitcnt lgkmcnt(4)                                       // 0000000045FC: BF8CC47F
	v_mfma_f32_16x16x128_f8f6f4 v[44:47], a[40:47], a[0:7], 0  // 000000004600: D3AD002C 1A020128
	ds_read_b64_tr_b8 a[120:121], v6                           // 000000004608: DBC40000 78000006
	ds_read_b64_tr_b8 a[122:123], v7                           // 000000004610: DBC40000 7A000007
	ds_read_b64_tr_b8 a[124:125], v6 offset:18432              // 000000004618: DBC44800 7C000006
	ds_read_b64_tr_b8 a[126:127], v7 offset:18432              // 000000004620: DBC44800 7E000007
	v_mfma_f32_16x16x128_f8f6f4 v[44:47], a[48:55], a[8:15], v[44:47]// 000000004628: D3AD002C 1CB21130
	v_mfma_f32_16x16x128_f8f6f4 v[44:47], a[56:63], a[16:23], v[44:47]// 000000004630: D3AD002C 1CB22138
	ds_read_b64_tr_b8 a[128:129], v8                           // 000000004638: DBC40000 80000008
	ds_read_b64_tr_b8 a[130:131], v9                           // 000000004640: DBC40000 82000009
	ds_read_b64_tr_b8 a[132:133], v8 offset:18432              // 000000004648: DBC44800 84000008
	ds_read_b64_tr_b8 a[134:135], v9 offset:18432              // 000000004650: DBC44800 86000009
	v_mfma_f32_16x16x128_f8f6f4 v[44:47], a[64:71], a[24:31], v[44:47]// 000000004658: D3AD002C 1CB23140
	v_mfma_f32_16x16x128_f8f6f4 v[44:47], a[72:79], a[32:39], v[44:47]// 000000004660: D3AD002C 1CB24148
	ds_read_b64_tr_b8 a[136:137], v6 offset:1024               // 000000004668: DBC40400 88000006
	ds_read_b64_tr_b8 a[138:139], v7 offset:1024               // 000000004670: DBC40400 8A000007
	ds_read_b64_tr_b8 a[140:141], v6 offset:19456              // 000000004678: DBC44C00 8C000006
	ds_read_b64_tr_b8 a[142:143], v7 offset:19456              // 000000004680: DBC44C00 8E000007
	v_mfma_f32_16x16x128_f8f6f4 v[48:51], a[80:87], a[0:7], 0  // 000000004688: D3AD0030 1A020150
	v_mfma_f32_16x16x128_f8f6f4 v[48:51], a[88:95], a[8:15], v[48:51]// 000000004690: D3AD0030 1CC21158
	ds_read_b64_tr_b8 a[144:145], v8 offset:1024               // 000000004698: DBC40400 90000008
	ds_read_b64_tr_b8 a[146:147], v9 offset:1024               // 0000000046A0: DBC40400 92000009
	ds_read_b64_tr_b8 a[148:149], v8 offset:19456              // 0000000046A8: DBC44C00 94000008
	ds_read_b64_tr_b8 a[150:151], v9 offset:19456              // 0000000046B0: DBC44C00 96000009
	v_mfma_f32_16x16x128_f8f6f4 v[48:51], a[96:103], a[16:23], v[48:51]// 0000000046B8: D3AD0030 1CC22160
	v_mfma_f32_16x16x128_f8f6f4 v[48:51], a[104:111], a[24:31], v[48:51]// 0000000046C0: D3AD0030 1CC23168
	ds_read_b64_tr_b8 a[152:153], v6 offset:2048               // 0000000046C8: DBC40800 98000006
	ds_read_b64_tr_b8 a[154:155], v7 offset:2048               // 0000000046D0: DBC40800 9A000007
	ds_read_b64_tr_b8 a[156:157], v6 offset:20480              // 0000000046D8: DBC45000 9C000006
	ds_read_b64_tr_b8 a[158:159], v7 offset:20480              // 0000000046E0: DBC45000 9E000007
	v_mfma_f32_16x16x128_f8f6f4 v[48:51], a[112:119], a[32:39], v[48:51]// 0000000046E8: D3AD0030 1CC24170
	ds_read_b64_tr_b8 a[160:161], v8 offset:2048               // 0000000046F0: DBC40800 A0000008
	ds_read_b64_tr_b8 a[162:163], v9 offset:2048               // 0000000046F8: DBC40800 A2000009
	ds_read_b64_tr_b8 a[164:165], v8 offset:20480              // 000000004700: DBC45000 A4000008
	ds_read_b64_tr_b8 a[166:167], v9 offset:20480              // 000000004708: DBC45000 A6000009
	ds_read_b64_tr_b8 a[168:169], v6 offset:3072               // 000000004710: DBC40C00 A8000006
	ds_read_b64_tr_b8 a[170:171], v7 offset:3072               // 000000004718: DBC40C00 AA000007
	ds_read_b64_tr_b8 a[172:173], v6 offset:21504              // 000000004720: DBC45400 AC000006
	ds_read_b64_tr_b8 a[174:175], v7 offset:21504              // 000000004728: DBC45400 AE000007
	ds_read_b64_tr_b8 a[176:177], v8 offset:3072               // 000000004730: DBC40C00 B0000008
	ds_read_b64_tr_b8 a[178:179], v9 offset:3072               // 000000004738: DBC40C00 B2000009
	ds_read_b64_tr_b8 a[180:181], v8 offset:21504              // 000000004740: DBC45400 B4000008
	ds_read_b64_tr_b8 a[182:183], v9 offset:21504              // 000000004748: DBC45400 B6000009
	s_cmp_le_i32 s83, s82                                      // 000000004750: BF055253
	s_cbranch_scc1 label_2508                                  // 000000004754: BF85006C
	v_mov_b32_e32 v27, s82                                     // 000000004758: 7E360252
	v_add_i32 v27, s7, v27                                     // 00000000475C: D29C001B 00023607
	s_sub_u32 s56, s83, 63                                     // 000000004764: 80B8BF53
	v_lshrrev_b32_e32 v187, 4, v0                              // 000000004768: 21760084
	v_mul_i32_i24_e32 v187, 4, v187                            // 00000000476C: 0D777684
	v_add_u32_e32 v187, s56, v187                              // 000000004770: 69777638
	v_add_u32_e32 v188, 1, v187                                // 000000004774: 69797681
	v_add_u32_e32 v189, 2, v187                                // 000000004778: 697B7682
	v_add_u32_e32 v190, 3, v187                                // 00000000477C: 697D7683
	v_mov_b32_e32 v28, 0xff800000                              // 000000004780: 7E3802FF FF800000
	v_cmp_le_i32_e64 s[36:37], v187, v27                       // 000000004788: D0C30024 000237BB
	v_add_u32_e32 v187, 16, v187                               // 000000004790: 69777690
	s_nop 0                                                    // 000000004794: BF800000
	v_cndmask_b32_e64 v36, v28, v36, s[36:37]                  // 000000004798: D1000024 0092491C
	v_cmp_le_i32_e64 s[36:37], v188, v27                       // 0000000047A0: D0C30024 000237BC
	v_add_u32_e32 v188, 16, v188                               // 0000000047A8: 69797890
	s_nop 0                                                    // 0000000047AC: BF800000
	v_cndmask_b32_e64 v37, v28, v37, s[36:37]                  // 0000000047B0: D1000025 00924B1C
	v_cmp_le_i32_e64 s[36:37], v189, v27                       // 0000000047B8: D0C30024 000237BD
	v_add_u32_e32 v189, 16, v189                               // 0000000047C0: 697B7A90
	s_nop 0                                                    // 0000000047C4: BF800000
	v_cndmask_b32_e64 v38, v28, v38, s[36:37]                  // 0000000047C8: D1000026 00924D1C
	v_cmp_le_i32_e64 s[36:37], v190, v27                       // 0000000047D0: D0C30024 000237BE
	v_add_u32_e32 v190, 16, v190                               // 0000000047D8: 697D7C90
	s_nop 0                                                    // 0000000047DC: BF800000
	v_cndmask_b32_e64 v39, v28, v39, s[36:37]                  // 0000000047E0: D1000027 00924F1C
	v_cmp_le_i32_e64 s[36:37], v187, v27                       // 0000000047E8: D0C30024 000237BB
	v_add_u32_e32 v187, 16, v187                               // 0000000047F0: 69777690
	s_nop 0                                                    // 0000000047F4: BF800000
	v_cndmask_b32_e64 v40, v28, v40, s[36:37]                  // 0000000047F8: D1000028 0092511C
	v_cmp_le_i32_e64 s[36:37], v188, v27                       // 000000004800: D0C30024 000237BC
	v_add_u32_e32 v188, 16, v188                               // 000000004808: 69797890
	s_nop 0                                                    // 00000000480C: BF800000
	v_cndmask_b32_e64 v41, v28, v41, s[36:37]                  // 000000004810: D1000029 0092531C
	v_cmp_le_i32_e64 s[36:37], v189, v27                       // 000000004818: D0C30024 000237BD
	v_add_u32_e32 v189, 16, v189                               // 000000004820: 697B7A90
	s_nop 0                                                    // 000000004824: BF800000
	v_cndmask_b32_e64 v42, v28, v42, s[36:37]                  // 000000004828: D100002A 0092551C
	v_cmp_le_i32_e64 s[36:37], v190, v27                       // 000000004830: D0C30024 000237BE
	v_add_u32_e32 v190, 16, v190                               // 000000004838: 697D7C90
	s_nop 0                                                    // 00000000483C: BF800000
	v_cndmask_b32_e64 v43, v28, v43, s[36:37]                  // 000000004840: D100002B 0092571C
	v_cmp_le_i32_e64 s[36:37], v187, v27                       // 000000004848: D0C30024 000237BB
	v_add_u32_e32 v187, 16, v187                               // 000000004850: 69777690
	s_nop 0                                                    // 000000004854: BF800000
	v_cndmask_b32_e64 v44, v28, v44, s[36:37]                  // 000000004858: D100002C 0092591C
	v_cmp_le_i32_e64 s[36:37], v188, v27                       // 000000004860: D0C30024 000237BC
	v_add_u32_e32 v188, 16, v188                               // 000000004868: 69797890
	s_nop 0                                                    // 00000000486C: BF800000
	v_cndmask_b32_e64 v45, v28, v45, s[36:37]                  // 000000004870: D100002D 00925B1C
	v_cmp_le_i32_e64 s[36:37], v189, v27                       // 000000004878: D0C30024 000237BD
	v_add_u32_e32 v189, 16, v189                               // 000000004880: 697B7A90
	s_nop 0                                                    // 000000004884: BF800000
	v_cndmask_b32_e64 v46, v28, v46, s[36:37]                  // 000000004888: D100002E 00925D1C
	v_cmp_le_i32_e64 s[36:37], v190, v27                       // 000000004890: D0C30024 000237BE
	v_add_u32_e32 v190, 16, v190                               // 000000004898: 697D7C90
	s_nop 0                                                    // 00000000489C: BF800000
	v_cndmask_b32_e64 v47, v28, v47, s[36:37]                  // 0000000048A0: D100002F 00925F1C
	v_cmp_le_i32_e64 s[36:37], v187, v27                       // 0000000048A8: D0C30024 000237BB
	v_add_u32_e32 v187, 16, v187                               // 0000000048B0: 69777690
	s_nop 0                                                    // 0000000048B4: BF800000
	v_cndmask_b32_e64 v48, v28, v48, s[36:37]                  // 0000000048B8: D1000030 0092611C
	v_cmp_le_i32_e64 s[36:37], v188, v27                       // 0000000048C0: D0C30024 000237BC
	v_add_u32_e32 v188, 16, v188                               // 0000000048C8: 69797890
	s_nop 0                                                    // 0000000048CC: BF800000
	v_cndmask_b32_e64 v49, v28, v49, s[36:37]                  // 0000000048D0: D1000031 0092631C
	v_cmp_le_i32_e64 s[36:37], v189, v27                       // 0000000048D8: D0C30024 000237BD
	v_add_u32_e32 v189, 16, v189                               // 0000000048E0: 697B7A90
	s_nop 0                                                    // 0000000048E4: BF800000
	v_cndmask_b32_e64 v50, v28, v50, s[36:37]                  // 0000000048E8: D1000032 0092651C
	v_cmp_le_i32_e64 s[36:37], v190, v27                       // 0000000048F0: D0C30024 000237BE
	v_add_u32_e32 v190, 16, v190                               // 0000000048F8: 697D7C90
	s_nop 0                                                    // 0000000048FC: BF800000
	v_cndmask_b32_e64 v51, v28, v51, s[36:37]                  // 000000004900: D1000033 0092671C

0000000000004908 <label_2508>:
	s_add_u32 s83, s84, s83                                    // 000000004908: 80535354
	s_nop 2                                                    // 00000000490C: BF800002
	v_mov_b32_e32 v28, v36                                     // 000000004910: 7E380324
	v_max3_f32 v28, v36, v37, v28                              // 000000004914: D1D3001C 04724B24
	v_max3_f32 v28, v38, v39, v28                              // 00000000491C: D1D3001C 04724F26
	v_max3_f32 v28, v40, v41, v28                              // 000000004924: D1D3001C 04725328
	v_max3_f32 v28, v42, v43, v28                              // 00000000492C: D1D3001C 0472572A
	v_max3_f32 v28, v44, v45, v28                              // 000000004934: D1D3001C 04725B2C
	v_max3_f32 v28, v46, v47, v28                              // 00000000493C: D1D3001C 04725F2E
	v_max3_f32 v28, v48, v49, v28                              // 000000004944: D1D3001C 04726330
	v_max3_f32 v28, v50, v51, v28                              // 00000000494C: D1D3001C 04726732
	v_mov_b32_e32 v27, v28                                     // 000000004954: 7E36031C
	v_mov_b32_e32 v28, v28                                     // 000000004958: 7E38031C
	s_nop 1                                                    // 00000000495C: BF800001
	v_permlane16_swap_b32_e32 v27, v28                         // 000000004960: 7E36B31C
	v_mov_b32_e32 v30, v27                                     // 000000004964: 7E3C031B
	v_mov_b32_e32 v29, v28                                     // 000000004968: 7E3A031C
	s_nop 1                                                    // 00000000496C: BF800001
	v_permlane32_swap_b32_e32 v27, v28                         // 000000004970: 7E36B51C
	v_permlane32_swap_b32_e32 v29, v30                         // 000000004974: 7E3AB51E
	v_max3_f32 v28, v27, v28, v28                              // 000000004978: D1D3001C 0472391B
	v_max3_f32 v28, v29, v30, v28                              // 000000004980: D1D3001C 04723D1D
	v_mov_b32_e32 v27, 0xff800000                              // 000000004988: 7E3602FF FF800000
	v_cmp_eq_u32_e64 s[36:37], v27, v2                         // 000000004990: D0CA0024 0002051B
	v_max_f32_e32 v28, v28, v2                                 // 000000004998: 1638051C
	v_sub_f32_e32 v18, v2, v28                                 // 00000000499C: 04243902
	v_cndmask_b32_e64 v18, v18, 0, s[36:37]                    // 0000000049A0: D1000012 00910112
	v_mov_b32_e32 v2, v28                                      // 0000000049A8: 7E04031C
	v_mul_f32_e32 v28, s5, v28                                 // 0000000049AC: 0A383805
	v_mul_f32_e32 v18, s5, v18                                 // 0000000049B0: 0A242405
	v_exp_f32_e32 v18, v18                                     // 0000000049B4: 7E244112
	v_fma_f32 v36, v36, s5, -v28                               // 0000000049B8: D1CB0024 84700B24
	v_fma_f32 v37, v37, s5, -v28                               // 0000000049C0: D1CB0025 84700B25
	v_fma_f32 v38, v38, s5, -v28                               // 0000000049C8: D1CB0026 84700B26
	v_fma_f32 v39, v39, s5, -v28                               // 0000000049D0: D1CB0027 84700B27
	v_fma_f32 v40, v40, s5, -v28                               // 0000000049D8: D1CB0028 84700B28
	v_fma_f32 v41, v41, s5, -v28                               // 0000000049E0: D1CB0029 84700B29
	v_fma_f32 v42, v42, s5, -v28                               // 0000000049E8: D1CB002A 84700B2A
	v_fma_f32 v43, v43, s5, -v28                               // 0000000049F0: D1CB002B 84700B2B
	v_fma_f32 v44, v44, s5, -v28                               // 0000000049F8: D1CB002C 84700B2C
	v_fma_f32 v45, v45, s5, -v28                               // 000000004A00: D1CB002D 84700B2D
	v_fma_f32 v46, v46, s5, -v28                               // 000000004A08: D1CB002E 84700B2E
	v_fma_f32 v47, v47, s5, -v28                               // 000000004A10: D1CB002F 84700B2F
	v_fma_f32 v48, v48, s5, -v28                               // 000000004A18: D1CB0030 84700B30
	v_fma_f32 v49, v49, s5, -v28                               // 000000004A20: D1CB0031 84700B31
	v_fma_f32 v50, v50, s5, -v28                               // 000000004A28: D1CB0032 84700B32
	v_fma_f32 v51, v51, s5, -v28                               // 000000004A30: D1CB0033 84700B33
	v_exp_f32_e32 v36, v36                                     // 000000004A38: 7E484124
	v_exp_f32_e32 v37, v37                                     // 000000004A3C: 7E4A4125
	v_exp_f32_e32 v38, v38                                     // 000000004A40: 7E4C4126
	v_exp_f32_e32 v39, v39                                     // 000000004A44: 7E4E4127
	v_exp_f32_e32 v40, v40                                     // 000000004A48: 7E504128
	v_exp_f32_e32 v41, v41                                     // 000000004A4C: 7E524129
	v_exp_f32_e32 v42, v42                                     // 000000004A50: 7E54412A
	v_exp_f32_e32 v43, v43                                     // 000000004A54: 7E56412B
	v_exp_f32_e32 v44, v44                                     // 000000004A58: 7E58412C
	v_exp_f32_e32 v45, v45                                     // 000000004A5C: 7E5A412D
	v_exp_f32_e32 v46, v46                                     // 000000004A60: 7E5C412E
	v_exp_f32_e32 v47, v47                                     // 000000004A64: 7E5E412F
	v_exp_f32_e32 v48, v48                                     // 000000004A68: 7E604130
	v_exp_f32_e32 v49, v49                                     // 000000004A6C: 7E624131
	v_exp_f32_e32 v50, v50                                     // 000000004A70: 7E644132
	v_exp_f32_e32 v51, v51                                     // 000000004A74: 7E664133
	v_mul_f32_e32 v4, v18, v4                                  // 000000004A78: 0A080912
	v_mov_b32_e32 v27, v36                                     // 000000004A7C: 7E360324
	v_add_f32_e32 v27, v37, v27                                // 000000004A80: 02363725
	v_add_f32_e32 v27, v38, v27                                // 000000004A84: 02363726
	v_add_f32_e32 v27, v39, v27                                // 000000004A88: 02363727
	v_add_f32_e32 v27, v40, v27                                // 000000004A8C: 02363728
	v_add_f32_e32 v27, v41, v27                                // 000000004A90: 02363729
	v_add_f32_e32 v27, v42, v27                                // 000000004A94: 0236372A
	v_add_f32_e32 v27, v43, v27                                // 000000004A98: 0236372B
	v_add_f32_e32 v27, v44, v27                                // 000000004A9C: 0236372C
	v_add_f32_e32 v27, v45, v27                                // 000000004AA0: 0236372D
	v_add_f32_e32 v27, v46, v27                                // 000000004AA4: 0236372E
	v_add_f32_e32 v27, v47, v27                                // 000000004AA8: 0236372F
	v_add_f32_e32 v27, v48, v27                                // 000000004AAC: 02363730
	v_add_f32_e32 v27, v49, v27                                // 000000004AB0: 02363731
	v_add_f32_e32 v27, v50, v27                                // 000000004AB4: 02363732
	v_add_f32_e32 v27, v51, v27                                // 000000004AB8: 02363733
	v_add_f32_e32 v4, v27, v4                                  // 000000004ABC: 0208091B
	v_cvt_pk_fp8_f32 v36, v36, v37                             // 000000004AC0: D2A20024 00024B24
	v_cvt_pk_fp8_f32 v36, v38, v39 op_sel:[0,0,1]              // 000000004AC8: D2A24024 00024F26
	v_cvt_pk_fp8_f32 v37, v40, v41                             // 000000004AD0: D2A20025 00025328
	v_cvt_pk_fp8_f32 v37, v42, v43 op_sel:[0,0,1]              // 000000004AD8: D2A24025 0002572A
	v_cvt_pk_fp8_f32 v38, v44, v45                             // 000000004AE0: D2A20026 00025B2C
	v_cvt_pk_fp8_f32 v38, v46, v47 op_sel:[0,0,1]              // 000000004AE8: D2A24026 00025F2E
	v_cvt_pk_fp8_f32 v39, v48, v49                             // 000000004AF0: D2A20027 00026330
	v_cvt_pk_fp8_f32 v39, v50, v51 op_sel:[0,0,1]              // 000000004AF8: D2A24027 00026732
	s_nop 0                                                    // 000000004B00: BF800000
	v_permlane16_swap_b32_e32 v36, v37                         // 000000004B04: 7E48B325
	v_permlane16_swap_b32_e32 v38, v39                         // 000000004B08: 7E4CB327
	s_nop 0                                                    // 000000004B0C: BF800000
	v_permlane32_swap_b32_e32 v36, v38                         // 000000004B10: 7E48B526
	v_permlane32_swap_b32_e32 v37, v39                         // 000000004B14: 7E4AB527
	ds_write_b128 v32, v[36:39]                                // 000000004B18: D9BE0000 00002420
	s_waitcnt lgkmcnt(0)                                       // 000000004B20: BF8CC07F
	s_barrier                                                  // 000000004B24: BF8A0000
	ds_read_b128 v[36:39], v33                                 // 000000004B28: D9FE0000 24000021
	ds_read_b128 v[40:43], v33 offset:1024                     // 000000004B30: D9FE0400 28000021
	s_waitcnt lgkmcnt(0)                                       // 000000004B38: BF8CC07F
	v_permlane16_swap_b32_e32 v36, v40                         // 000000004B3C: 7E48B328
	v_permlane16_swap_b32_e32 v37, v41                         // 000000004B40: 7E4AB329
	v_permlane16_swap_b32_e32 v38, v42                         // 000000004B44: 7E4CB32A
	v_permlane16_swap_b32_e32 v39, v43                         // 000000004B48: 7E4EB32B
	v_permlane32_swap_b32_e32 v36, v40                         // 000000004B4C: 7E48B528
	v_permlane32_swap_b32_e32 v37, v41                         // 000000004B50: 7E4AB529
	v_permlane32_swap_b32_e32 v38, v42                         // 000000004B54: 7E4CB52A
	v_permlane32_swap_b32_e32 v39, v43                         // 000000004B58: 7E4EB52B
	ds_write_b32 v34, v18                                      // 000000004B5C: D81A0000 00001222
	s_waitcnt lgkmcnt(0)                                       // 000000004B64: BF8CC07F
	s_barrier                                                  // 000000004B68: BF8A0000
	ds_read_b32 v27, v35                                       // 000000004B6C: D86C0000 1B000023
	s_waitcnt lgkmcnt(0)                                       // 000000004B74: BF8CC07F
	v_mul_f32_e32 v56, v27, v56                                // 000000004B78: 0A70711B
	v_mul_f32_e32 v57, v27, v57                                // 000000004B7C: 0A72731B
	v_mul_f32_e32 v58, v27, v58                                // 000000004B80: 0A74751B
	v_mul_f32_e32 v59, v27, v59                                // 000000004B84: 0A76771B
	v_mul_f32_e32 v60, v27, v60                                // 000000004B88: 0A78791B
	v_mul_f32_e32 v61, v27, v61                                // 000000004B8C: 0A7A7B1B
	v_mul_f32_e32 v62, v27, v62                                // 000000004B90: 0A7C7D1B
	v_mul_f32_e32 v63, v27, v63                                // 000000004B94: 0A7E7F1B
	v_mul_f32_e32 v64, v27, v64                                // 000000004B98: 0A80811B
	v_mul_f32_e32 v65, v27, v65                                // 000000004B9C: 0A82831B
	v_mul_f32_e32 v66, v27, v66                                // 000000004BA0: 0A84851B
	v_mul_f32_e32 v67, v27, v67                                // 000000004BA4: 0A86871B
	v_mul_f32_e32 v68, v27, v68                                // 000000004BA8: 0A88891B
	v_mul_f32_e32 v69, v27, v69                                // 000000004BAC: 0A8A8B1B
	v_mul_f32_e32 v70, v27, v70                                // 000000004BB0: 0A8C8D1B
	v_mul_f32_e32 v71, v27, v71                                // 000000004BB4: 0A8E8F1B
	v_mul_f32_e32 v72, v27, v72                                // 000000004BB8: 0A90911B
	v_mul_f32_e32 v73, v27, v73                                // 000000004BBC: 0A92931B
	v_mul_f32_e32 v74, v27, v74                                // 000000004BC0: 0A94951B
	v_mul_f32_e32 v75, v27, v75                                // 000000004BC4: 0A96971B
	v_mul_f32_e32 v76, v27, v76                                // 000000004BC8: 0A98991B
	v_mul_f32_e32 v77, v27, v77                                // 000000004BCC: 0A9A9B1B
	v_mul_f32_e32 v78, v27, v78                                // 000000004BD0: 0A9C9D1B
	v_mul_f32_e32 v79, v27, v79                                // 000000004BD4: 0A9E9F1B
	v_mul_f32_e32 v80, v27, v80                                // 000000004BD8: 0AA0A11B
	v_mul_f32_e32 v81, v27, v81                                // 000000004BDC: 0AA2A31B
	v_mul_f32_e32 v82, v27, v82                                // 000000004BE0: 0AA4A51B
	v_mul_f32_e32 v83, v27, v83                                // 000000004BE4: 0AA6A71B
	v_mul_f32_e32 v84, v27, v84                                // 000000004BE8: 0AA8A91B
	v_mul_f32_e32 v85, v27, v85                                // 000000004BEC: 0AAAAB1B
	v_mul_f32_e32 v86, v27, v86                                // 000000004BF0: 0AACAD1B
	v_mul_f32_e32 v87, v27, v87                                // 000000004BF4: 0AAEAF1B
	v_mul_f32_e32 v88, v27, v88                                // 000000004BF8: 0AB0B11B
	v_mul_f32_e32 v89, v27, v89                                // 000000004BFC: 0AB2B31B
	v_mul_f32_e32 v90, v27, v90                                // 000000004C00: 0AB4B51B
	v_mul_f32_e32 v91, v27, v91                                // 000000004C04: 0AB6B71B
	v_mul_f32_e32 v92, v27, v92                                // 000000004C08: 0AB8B91B
	v_mul_f32_e32 v93, v27, v93                                // 000000004C0C: 0ABABB1B
	v_mul_f32_e32 v94, v27, v94                                // 000000004C10: 0ABCBD1B
	v_mul_f32_e32 v95, v27, v95                                // 000000004C14: 0ABEBF1B
	v_mul_f32_e32 v96, v27, v96                                // 000000004C18: 0AC0C11B
	v_mul_f32_e32 v97, v27, v97                                // 000000004C1C: 0AC2C31B
	v_mul_f32_e32 v98, v27, v98                                // 000000004C20: 0AC4C51B
	v_mul_f32_e32 v99, v27, v99                                // 000000004C24: 0AC6C71B
	v_mul_f32_e32 v100, v27, v100                              // 000000004C28: 0AC8C91B
	v_mul_f32_e32 v101, v27, v101                              // 000000004C2C: 0ACACB1B
	v_mul_f32_e32 v102, v27, v102                              // 000000004C30: 0ACCCD1B
	v_mul_f32_e32 v103, v27, v103                              // 000000004C34: 0ACECF1B
	v_mul_f32_e32 v104, v27, v104                              // 000000004C38: 0AD0D11B
	v_mul_f32_e32 v105, v27, v105                              // 000000004C3C: 0AD2D31B
	v_mul_f32_e32 v106, v27, v106                              // 000000004C40: 0AD4D51B
	v_mul_f32_e32 v107, v27, v107                              // 000000004C44: 0AD6D71B
	v_mul_f32_e32 v108, v27, v108                              // 000000004C48: 0AD8D91B
	v_mul_f32_e32 v109, v27, v109                              // 000000004C4C: 0ADADB1B
	v_mul_f32_e32 v110, v27, v110                              // 000000004C50: 0ADCDD1B
	v_mul_f32_e32 v111, v27, v111                              // 000000004C54: 0ADEDF1B
	v_mul_f32_e32 v112, v27, v112                              // 000000004C58: 0AE0E11B
	v_mul_f32_e32 v113, v27, v113                              // 000000004C5C: 0AE2E31B
	v_mul_f32_e32 v114, v27, v114                              // 000000004C60: 0AE4E51B
	v_mul_f32_e32 v115, v27, v115                              // 000000004C64: 0AE6E71B
	v_mul_f32_e32 v116, v27, v116                              // 000000004C68: 0AE8E91B
	v_mul_f32_e32 v117, v27, v117                              // 000000004C6C: 0AEAEB1B
	v_mul_f32_e32 v118, v27, v118                              // 000000004C70: 0AECED1B
	v_mul_f32_e32 v119, v27, v119                              // 000000004C74: 0AEEEF1B
	v_mul_f32_e32 v120, v27, v120                              // 000000004C78: 0AF0F11B
	v_mul_f32_e32 v121, v27, v121                              // 000000004C7C: 0AF2F31B
	v_mul_f32_e32 v122, v27, v122                              // 000000004C80: 0AF4F51B
	v_mul_f32_e32 v123, v27, v123                              // 000000004C84: 0AF6F71B
	v_mul_f32_e32 v124, v27, v124                              // 000000004C88: 0AF8F91B
	v_mul_f32_e32 v125, v27, v125                              // 000000004C8C: 0AFAFB1B
	v_mul_f32_e32 v126, v27, v126                              // 000000004C90: 0AFCFD1B
	v_mul_f32_e32 v127, v27, v127                              // 000000004C94: 0AFEFF1B
	v_mul_f32_e32 v128, v27, v128                              // 000000004C98: 0B01011B
	v_mul_f32_e32 v129, v27, v129                              // 000000004C9C: 0B03031B
	v_mul_f32_e32 v130, v27, v130                              // 000000004CA0: 0B05051B
	v_mul_f32_e32 v131, v27, v131                              // 000000004CA4: 0B07071B
	v_mul_f32_e32 v132, v27, v132                              // 000000004CA8: 0B09091B
	v_mul_f32_e32 v133, v27, v133                              // 000000004CAC: 0B0B0B1B
	v_mul_f32_e32 v134, v27, v134                              // 000000004CB0: 0B0D0D1B
	v_mul_f32_e32 v135, v27, v135                              // 000000004CB4: 0B0F0F1B
	v_mul_f32_e32 v136, v27, v136                              // 000000004CB8: 0B11111B
	v_mul_f32_e32 v137, v27, v137                              // 000000004CBC: 0B13131B
	v_mul_f32_e32 v138, v27, v138                              // 000000004CC0: 0B15151B
	v_mul_f32_e32 v139, v27, v139                              // 000000004CC4: 0B17171B
	v_mul_f32_e32 v140, v27, v140                              // 000000004CC8: 0B19191B
	v_mul_f32_e32 v141, v27, v141                              // 000000004CCC: 0B1B1B1B
	v_mul_f32_e32 v142, v27, v142                              // 000000004CD0: 0B1D1D1B
	v_mul_f32_e32 v143, v27, v143                              // 000000004CD4: 0B1F1F1B
	v_mul_f32_e32 v144, v27, v144                              // 000000004CD8: 0B21211B
	v_mul_f32_e32 v145, v27, v145                              // 000000004CDC: 0B23231B
	v_mul_f32_e32 v146, v27, v146                              // 000000004CE0: 0B25251B
	v_mul_f32_e32 v147, v27, v147                              // 000000004CE4: 0B27271B
	v_mul_f32_e32 v148, v27, v148                              // 000000004CE8: 0B29291B
	v_mul_f32_e32 v149, v27, v149                              // 000000004CEC: 0B2B2B1B
	v_mul_f32_e32 v150, v27, v150                              // 000000004CF0: 0B2D2D1B
	v_mul_f32_e32 v151, v27, v151                              // 000000004CF4: 0B2F2F1B
	v_mul_f32_e32 v152, v27, v152                              // 000000004CF8: 0B31311B
	v_mul_f32_e32 v153, v27, v153                              // 000000004CFC: 0B33331B
	v_mul_f32_e32 v154, v27, v154                              // 000000004D00: 0B35351B
	v_mul_f32_e32 v155, v27, v155                              // 000000004D04: 0B37371B
	v_mul_f32_e32 v156, v27, v156                              // 000000004D08: 0B39391B
	v_mul_f32_e32 v157, v27, v157                              // 000000004D0C: 0B3B3B1B
	v_mul_f32_e32 v158, v27, v158                              // 000000004D10: 0B3D3D1B
	v_mul_f32_e32 v159, v27, v159                              // 000000004D14: 0B3F3F1B
	v_mul_f32_e32 v160, v27, v160                              // 000000004D18: 0B41411B
	v_mul_f32_e32 v161, v27, v161                              // 000000004D1C: 0B43431B
	v_mul_f32_e32 v162, v27, v162                              // 000000004D20: 0B45451B
	v_mul_f32_e32 v163, v27, v163                              // 000000004D24: 0B47471B
	v_mul_f32_e32 v164, v27, v164                              // 000000004D28: 0B49491B
	v_mul_f32_e32 v165, v27, v165                              // 000000004D2C: 0B4B4B1B
	v_mul_f32_e32 v166, v27, v166                              // 000000004D30: 0B4D4D1B
	v_mul_f32_e32 v167, v27, v167                              // 000000004D34: 0B4F4F1B
	v_mul_f32_e32 v168, v27, v168                              // 000000004D38: 0B51511B
	v_mul_f32_e32 v169, v27, v169                              // 000000004D3C: 0B53531B
	v_mul_f32_e32 v170, v27, v170                              // 000000004D40: 0B55551B
	v_mul_f32_e32 v171, v27, v171                              // 000000004D44: 0B57571B
	v_mul_f32_e32 v172, v27, v172                              // 000000004D48: 0B59591B
	v_mul_f32_e32 v173, v27, v173                              // 000000004D4C: 0B5B5B1B
	v_mul_f32_e32 v174, v27, v174                              // 000000004D50: 0B5D5D1B
	v_mul_f32_e32 v175, v27, v175                              // 000000004D54: 0B5F5F1B
	v_mul_f32_e32 v176, v27, v176                              // 000000004D58: 0B61611B
	v_mul_f32_e32 v177, v27, v177                              // 000000004D5C: 0B63631B
	v_mul_f32_e32 v178, v27, v178                              // 000000004D60: 0B65651B
	v_mul_f32_e32 v179, v27, v179                              // 000000004D64: 0B67671B
	v_mul_f32_e32 v180, v27, v180                              // 000000004D68: 0B69691B
	v_mul_f32_e32 v181, v27, v181                              // 000000004D6C: 0B6B6B1B
	v_mul_f32_e32 v182, v27, v182                              // 000000004D70: 0B6D6D1B
	v_mul_f32_e32 v183, v27, v183                              // 000000004D74: 0B6F6F1B
	s_waitcnt lgkmcnt(0)                                       // 000000004D78: BF8CC07F
	v_mfma_f32_32x32x64_f8f6f4 v[56:71], a[120:127], v[36:43], v[56:71]// 000000004D7C: D3AE0038 0CE24978
	v_mfma_f32_32x32x64_f8f6f4 v[72:87], a[128:135], v[36:43], v[72:87]// 000000004D84: D3AE0048 0D224980
	v_mfma_f32_32x32x64_f8f6f4 v[88:103], a[136:143], v[36:43], v[88:103]// 000000004D8C: D3AE0058 0D624988
	v_mfma_f32_32x32x64_f8f6f4 v[104:119], a[144:151], v[36:43], v[104:119]// 000000004D94: D3AE0068 0DA24990
	v_mfma_f32_32x32x64_f8f6f4 v[120:135], a[152:159], v[36:43], v[120:135]// 000000004D9C: D3AE0078 0DE24998
	v_mfma_f32_32x32x64_f8f6f4 v[136:151], a[160:167], v[36:43], v[136:151]// 000000004DA4: D3AE0088 0E2249A0
	v_mfma_f32_32x32x64_f8f6f4 v[152:167], a[168:175], v[36:43], v[152:167]// 000000004DAC: D3AE0098 0E6249A8
	v_mfma_f32_32x32x64_f8f6f4 v[168:183], a[176:183], v[36:43], v[168:183]// 000000004DB4: D3AE00A8 0EA249B0
	s_waitcnt lgkmcnt(0)                                       // 000000004DBC: BF8CC07F
	s_waitcnt vmcnt(10)                                        // 000000004DC0: BF8C0F7A
	s_barrier                                                  // 000000004DC4: BF8A0000
	ds_read_b128 a[40:43], v21                                 // 000000004DC8: DBFE0000 28000015
	ds_read_b128 a[44:47], v21 offset:1024                     // 000000004DD0: DBFE0400 2C000015
	ds_read_b128 a[48:51], v21 offset:2048                     // 000000004DD8: DBFE0800 30000015
	ds_read_b128 a[52:55], v21 offset:3072                     // 000000004DE0: DBFE0C00 34000015
	ds_read_b128 a[56:59], v21 offset:4096                     // 000000004DE8: DBFE1000 38000015
	ds_read_b128 a[60:63], v21 offset:5120                     // 000000004DF0: DBFE1400 3C000015
	ds_read_b128 a[64:67], v21 offset:6144                     // 000000004DF8: DBFE1800 40000015
	ds_read_b128 a[68:71], v21 offset:7168                     // 000000004E00: DBFE1C00 44000015
	ds_read_b128 a[72:75], v21 offset:8192                     // 000000004E08: DBFE2000 48000015
	ds_read_b128 a[80:83], v21 offset:9216                     // 000000004E10: DBFE2400 50000015
	ds_read_b128 a[84:87], v21 offset:10240                    // 000000004E18: DBFE2800 54000015
	ds_read_b128 a[88:91], v21 offset:11264                    // 000000004E20: DBFE2C00 58000015
	ds_read_b128 a[92:95], v21 offset:12288                    // 000000004E28: DBFE3000 5C000015
	ds_read_b128 a[96:99], v21 offset:13312                    // 000000004E30: DBFE3400 60000015
	ds_read_b128 a[100:103], v21 offset:14336                  // 000000004E38: DBFE3800 64000015
	ds_read_b128 a[104:107], v21 offset:15360                  // 000000004E40: DBFE3C00 68000015
	ds_read_b128 a[108:111], v21 offset:16384                  // 000000004E48: DBFE4000 6C000015
	ds_read_b128 a[112:115], v21 offset:17408                  // 000000004E50: DBFE4400 70000015
	s_addk_i32 s70, 0x1                                        // 000000004E58: B7460001
	s_cmp_lt_i32 s70, s71                                      // 000000004E5C: BF044746
	s_cbranch_scc0 label_2A68                                  // 000000004E60: BF840001
	s_branch label_0C4C                                        // 000000004E64: BF82F879

0000000000004e68 <label_2A68>:
	s_nop 0                                                    // 000000004E68: BF800000
	s_nop 0                                                    // 000000004E6C: BF800000
	s_branch label_4890                                        // 000000004E70: BF820787

0000000000004e74 <label_2A74>:
	s_waitcnt lgkmcnt(4)                                       // 000000004E74: BF8CC47F
	v_mfma_f32_16x16x128_f8f6f4 v[36:39], a[40:47], a[0:7], 0  // 000000004E78: D3AD0024 1A020128
	v_mul_u32_u24_e64 v30, v25, s68                            // 000000004E80: D108001E 00008919
	v_add_u32_e32 v30, v30, v1                                 // 000000004E88: 683C031E
	buffer_load_dword v24, v26, s[24:27], 0 offen              // 000000004E8C: E0501000 8006181A
	ds_read_b128 a[40:43], v21 offset:18432                    // 000000004E94: DBFE4800 28000015
	v_mfma_f32_16x16x128_f8f6f4 v[36:39], a[48:55], a[8:15], v[36:39]// 000000004E9C: D3AD0024 1C921130
	s_mov_b32 s56, 0xb000                                      // 000000004EA4: BEB800FF 0000B000
	s_mul_i32 s57, s7, 0x2400                                  // 000000004EAC: 9239FF07 00002400
	s_add_u32 m0, s56, s57                                     // 000000004EB4: 807C3938
	buffer_load_dwordx4 v30, s[20:23], 0 offen lds             // 000000004EB8: E05D1000 8005001E
	s_add_i32 m0, m0, 0x3c0                                    // 000000004EC0: 817CFF7C 000003C0
	v_mfma_f32_16x16x128_f8f6f4 v[36:39], a[56:63], a[16:23], v[36:39]// 000000004EC8: D3AD0024 1C922138
	ds_read_b128 a[44:47], v21 offset:19456                    // 000000004ED0: DBFE4C00 2C000015
	v_mfma_f32_16x16x128_f8f6f4 v[36:39], a[64:71], a[24:31], v[36:39]// 000000004ED8: D3AD0024 1C923140
	buffer_load_dwordx4 v30, s[20:23], 0 offen offset:64 lds   // 000000004EE0: E05D1040 8005001E
	s_add_i32 m0, m0, 0x3c0                                    // 000000004EE8: 817CFF7C 000003C0
	v_mfma_f32_16x16x128_f8f6f4 v[36:39], a[72:79], a[32:39], v[36:39]// 000000004EF0: D3AD0024 1C924148
	ds_read_b128 a[48:51], v21 offset:20480                    // 000000004EF8: DBFE5000 30000015
	v_mfma_f32_16x16x128_f8f6f4 v[40:43], a[80:87], a[0:7], 0  // 000000004F00: D3AD0028 1A020150
	buffer_load_dwordx4 v30, s[20:23], 0 offen offset:128 lds  // 000000004F08: E05D1080 8005001E
	s_add_i32 m0, m0, 0x3c0                                    // 000000004F10: 817CFF7C 000003C0
	v_mfma_f32_16x16x128_f8f6f4 v[40:43], a[88:95], a[8:15], v[40:43]// 000000004F18: D3AD0028 1CA21158
	ds_read_b128 a[52:55], v21 offset:21504                    // 000000004F20: DBFE5400 34000015
	v_mfma_f32_16x16x128_f8f6f4 v[40:43], a[96:103], a[16:23], v[40:43]// 000000004F28: D3AD0028 1CA22160
	buffer_load_dwordx4 v30, s[20:23], 0 offen offset:192 lds  // 000000004F30: E05D10C0 8005001E
	s_add_i32 m0, m0, 0x3c0                                    // 000000004F38: 817CFF7C 000003C0
	v_mfma_f32_16x16x128_f8f6f4 v[40:43], a[104:111], a[24:31], v[40:43]// 000000004F40: D3AD0028 1CA23168
	ds_read_b128 a[56:59], v21 offset:22528                    // 000000004F48: DBFE5800 38000015
	v_mfma_f32_16x16x128_f8f6f4 v[40:43], a[112:119], a[32:39], v[40:43]// 000000004F50: D3AD0028 1CA24170
	buffer_load_dwordx4 v30, s[20:23], 0 offen offset:256 lds  // 000000004F58: E05D1100 8005001E
	s_add_i32 m0, m0, 0x3c0                                    // 000000004F60: 817CFF7C 000003C0
	buffer_load_dwordx4 v30, s[20:23], 0 offen offset:320 lds  // 000000004F68: E05D1140 8005001E
	s_add_i32 m0, m0, 0x3c0                                    // 000000004F70: 817CFF7C 000003C0
	buffer_load_dwordx4 v30, s[20:23], 0 offen offset:384 lds  // 000000004F78: E05D1180 8005001E
	s_add_i32 m0, m0, 0x3c0                                    // 000000004F80: 817CFF7C 000003C0
	buffer_load_dwordx4 v30, s[20:23], 0 offen offset:448 lds  // 000000004F88: E05D11C0 8005001E
	s_add_i32 m0, m0, 0x3c0                                    // 000000004F90: 817CFF7C 000003C0
	buffer_load_dwordx4 v30, s[20:23], 0 offen offset:512 lds  // 000000004F98: E05D1200 8005001E
	s_add_i32 m0, m0, 0x3c0                                    // 000000004FA0: 817CFF7C 000003C0
	ds_read_b128 a[60:63], v21 offset:23552                    // 000000004FA8: DBFE5C00 3C000015
	ds_read_b128 a[64:67], v21 offset:24576                    // 000000004FB0: DBFE6000 40000015
	ds_read_b128 a[68:71], v21 offset:25600                    // 000000004FB8: DBFE6400 44000015
	ds_read_b128 a[72:75], v21 offset:26624                    // 000000004FC0: DBFE6800 48000015
	ds_read_b128 a[80:83], v21 offset:27648                    // 000000004FC8: DBFE6C00 50000015
	ds_read_b128 a[84:87], v21 offset:28672                    // 000000004FD0: DBFE7000 54000015
	ds_read_b128 a[88:91], v21 offset:29696                    // 000000004FD8: DBFE7400 58000015
	ds_read_b128 a[92:95], v21 offset:30720                    // 000000004FE0: DBFE7800 5C000015
	ds_read_b128 a[96:99], v21 offset:31744                    // 000000004FE8: DBFE7C00 60000015
	ds_read_b128 a[100:103], v21 offset:32768                  // 000000004FF0: DBFE8000 64000015
	ds_read_b128 a[104:107], v21 offset:33792                  // 000000004FF8: DBFE8400 68000015
	ds_read_b128 a[108:111], v21 offset:34816                  // 000000005000: DBFE8800 6C000015
	ds_read_b128 a[112:115], v21 offset:35840                  // 000000005008: DBFE8C00 70000015
	v_add_u32_e32 v26, s73, v26                                // 000000005010: 68343449
	s_waitcnt lgkmcnt(4)                                       // 000000005014: BF8CC47F
	v_mfma_f32_16x16x128_f8f6f4 v[44:47], a[40:47], a[0:7], 0  // 000000005018: D3AD002C 1A020128
	ds_read_b64_tr_b8 a[120:121], v10                          // 000000005020: DBC40000 7800000A
	ds_read_b64_tr_b8 a[122:123], v11                          // 000000005028: DBC40000 7A00000B
	ds_read_b64_tr_b8 a[124:125], v10 offset:18432             // 000000005030: DBC44800 7C00000A
	ds_read_b64_tr_b8 a[126:127], v11 offset:18432             // 000000005038: DBC44800 7E00000B
	v_mfma_f32_16x16x128_f8f6f4 v[44:47], a[48:55], a[8:15], v[44:47]// 000000005040: D3AD002C 1CB21130
	v_mfma_f32_16x16x128_f8f6f4 v[44:47], a[56:63], a[16:23], v[44:47]// 000000005048: D3AD002C 1CB22138
	ds_read_b64_tr_b8 a[128:129], v12                          // 000000005050: DBC40000 8000000C
	ds_read_b64_tr_b8 a[130:131], v13                          // 000000005058: DBC40000 8200000D
	ds_read_b64_tr_b8 a[132:133], v12 offset:18432             // 000000005060: DBC44800 8400000C
	ds_read_b64_tr_b8 a[134:135], v13 offset:18432             // 000000005068: DBC44800 8600000D
	v_mfma_f32_16x16x128_f8f6f4 v[44:47], a[64:71], a[24:31], v[44:47]// 000000005070: D3AD002C 1CB23140
	v_mfma_f32_16x16x128_f8f6f4 v[44:47], a[72:79], a[32:39], v[44:47]// 000000005078: D3AD002C 1CB24148
	ds_read_b64_tr_b8 a[136:137], v10 offset:1024              // 000000005080: DBC40400 8800000A
	ds_read_b64_tr_b8 a[138:139], v11 offset:1024              // 000000005088: DBC40400 8A00000B
	ds_read_b64_tr_b8 a[140:141], v10 offset:19456             // 000000005090: DBC44C00 8C00000A
	ds_read_b64_tr_b8 a[142:143], v11 offset:19456             // 000000005098: DBC44C00 8E00000B
	v_mfma_f32_16x16x128_f8f6f4 v[48:51], a[80:87], a[0:7], 0  // 0000000050A0: D3AD0030 1A020150
	v_mfma_f32_16x16x128_f8f6f4 v[48:51], a[88:95], a[8:15], v[48:51]// 0000000050A8: D3AD0030 1CC21158
	ds_read_b64_tr_b8 a[144:145], v12 offset:1024              // 0000000050B0: DBC40400 9000000C
	ds_read_b64_tr_b8 a[146:147], v13 offset:1024              // 0000000050B8: DBC40400 9200000D
	ds_read_b64_tr_b8 a[148:149], v12 offset:19456             // 0000000050C0: DBC44C00 9400000C
	ds_read_b64_tr_b8 a[150:151], v13 offset:19456             // 0000000050C8: DBC44C00 9600000D
	v_mfma_f32_16x16x128_f8f6f4 v[48:51], a[96:103], a[16:23], v[48:51]// 0000000050D0: D3AD0030 1CC22160
	v_mfma_f32_16x16x128_f8f6f4 v[48:51], a[104:111], a[24:31], v[48:51]// 0000000050D8: D3AD0030 1CC23168
	ds_read_b64_tr_b8 a[152:153], v10 offset:2048              // 0000000050E0: DBC40800 9800000A
	ds_read_b64_tr_b8 a[154:155], v11 offset:2048              // 0000000050E8: DBC40800 9A00000B
	ds_read_b64_tr_b8 a[156:157], v10 offset:20480             // 0000000050F0: DBC45000 9C00000A
	ds_read_b64_tr_b8 a[158:159], v11 offset:20480             // 0000000050F8: DBC45000 9E00000B
	v_mfma_f32_16x16x128_f8f6f4 v[48:51], a[112:119], a[32:39], v[48:51]// 000000005100: D3AD0030 1CC24170
	ds_read_b64_tr_b8 a[160:161], v12 offset:2048              // 000000005108: DBC40800 A000000C
	ds_read_b64_tr_b8 a[162:163], v13 offset:2048              // 000000005110: DBC40800 A200000D
	ds_read_b64_tr_b8 a[164:165], v12 offset:20480             // 000000005118: DBC45000 A400000C
	ds_read_b64_tr_b8 a[166:167], v13 offset:20480             // 000000005120: DBC45000 A600000D
	ds_read_b64_tr_b8 a[168:169], v10 offset:3072              // 000000005128: DBC40C00 A800000A
	ds_read_b64_tr_b8 a[170:171], v11 offset:3072              // 000000005130: DBC40C00 AA00000B
	ds_read_b64_tr_b8 a[172:173], v10 offset:21504             // 000000005138: DBC45400 AC00000A
	ds_read_b64_tr_b8 a[174:175], v11 offset:21504             // 000000005140: DBC45400 AE00000B
	ds_read_b64_tr_b8 a[176:177], v12 offset:3072              // 000000005148: DBC40C00 B000000C
	ds_read_b64_tr_b8 a[178:179], v13 offset:3072              // 000000005150: DBC40C00 B200000D
	ds_read_b64_tr_b8 a[180:181], v12 offset:21504             // 000000005158: DBC45400 B400000C
	ds_read_b64_tr_b8 a[182:183], v13 offset:21504             // 000000005160: DBC45400 B600000D
	s_cmp_le_i32 s83, s82                                      // 000000005168: BF055253
	s_cbranch_scc1 label_2F20                                  // 00000000516C: BF85006C
	v_mov_b32_e32 v27, s82                                     // 000000005170: 7E360252
	v_add_i32 v27, s7, v27                                     // 000000005174: D29C001B 00023607
	s_sub_u32 s56, s83, 63                                     // 00000000517C: 80B8BF53
	v_lshrrev_b32_e32 v187, 4, v0                              // 000000005180: 21760084
	v_mul_i32_i24_e32 v187, 4, v187                            // 000000005184: 0D777684
	v_add_u32_e32 v187, s56, v187                              // 000000005188: 69777638
	v_add_u32_e32 v188, 1, v187                                // 00000000518C: 69797681
	v_add_u32_e32 v189, 2, v187                                // 000000005190: 697B7682
	v_add_u32_e32 v190, 3, v187                                // 000000005194: 697D7683
	v_mov_b32_e32 v28, 0xff800000                              // 000000005198: 7E3802FF FF800000
	v_cmp_le_i32_e64 s[36:37], v187, v27                       // 0000000051A0: D0C30024 000237BB
	v_add_u32_e32 v187, 16, v187                               // 0000000051A8: 69777690
	s_nop 0                                                    // 0000000051AC: BF800000
	v_cndmask_b32_e64 v36, v28, v36, s[36:37]                  // 0000000051B0: D1000024 0092491C
	v_cmp_le_i32_e64 s[36:37], v188, v27                       // 0000000051B8: D0C30024 000237BC
	v_add_u32_e32 v188, 16, v188                               // 0000000051C0: 69797890
	s_nop 0                                                    // 0000000051C4: BF800000
	v_cndmask_b32_e64 v37, v28, v37, s[36:37]                  // 0000000051C8: D1000025 00924B1C
	v_cmp_le_i32_e64 s[36:37], v189, v27                       // 0000000051D0: D0C30024 000237BD
	v_add_u32_e32 v189, 16, v189                               // 0000000051D8: 697B7A90
	s_nop 0                                                    // 0000000051DC: BF800000
	v_cndmask_b32_e64 v38, v28, v38, s[36:37]                  // 0000000051E0: D1000026 00924D1C
	v_cmp_le_i32_e64 s[36:37], v190, v27                       // 0000000051E8: D0C30024 000237BE
	v_add_u32_e32 v190, 16, v190                               // 0000000051F0: 697D7C90
	s_nop 0                                                    // 0000000051F4: BF800000
	v_cndmask_b32_e64 v39, v28, v39, s[36:37]                  // 0000000051F8: D1000027 00924F1C
	v_cmp_le_i32_e64 s[36:37], v187, v27                       // 000000005200: D0C30024 000237BB
	v_add_u32_e32 v187, 16, v187                               // 000000005208: 69777690
	s_nop 0                                                    // 00000000520C: BF800000
	v_cndmask_b32_e64 v40, v28, v40, s[36:37]                  // 000000005210: D1000028 0092511C
	v_cmp_le_i32_e64 s[36:37], v188, v27                       // 000000005218: D0C30024 000237BC
	v_add_u32_e32 v188, 16, v188                               // 000000005220: 69797890
	s_nop 0                                                    // 000000005224: BF800000
	v_cndmask_b32_e64 v41, v28, v41, s[36:37]                  // 000000005228: D1000029 0092531C
	v_cmp_le_i32_e64 s[36:37], v189, v27                       // 000000005230: D0C30024 000237BD
	v_add_u32_e32 v189, 16, v189                               // 000000005238: 697B7A90
	s_nop 0                                                    // 00000000523C: BF800000
	v_cndmask_b32_e64 v42, v28, v42, s[36:37]                  // 000000005240: D100002A 0092551C
	v_cmp_le_i32_e64 s[36:37], v190, v27                       // 000000005248: D0C30024 000237BE
	v_add_u32_e32 v190, 16, v190                               // 000000005250: 697D7C90
	s_nop 0                                                    // 000000005254: BF800000
	v_cndmask_b32_e64 v43, v28, v43, s[36:37]                  // 000000005258: D100002B 0092571C
	v_cmp_le_i32_e64 s[36:37], v187, v27                       // 000000005260: D0C30024 000237BB
	v_add_u32_e32 v187, 16, v187                               // 000000005268: 69777690
	s_nop 0                                                    // 00000000526C: BF800000
	v_cndmask_b32_e64 v44, v28, v44, s[36:37]                  // 000000005270: D100002C 0092591C
	v_cmp_le_i32_e64 s[36:37], v188, v27                       // 000000005278: D0C30024 000237BC
	v_add_u32_e32 v188, 16, v188                               // 000000005280: 69797890
	s_nop 0                                                    // 000000005284: BF800000
	v_cndmask_b32_e64 v45, v28, v45, s[36:37]                  // 000000005288: D100002D 00925B1C
	v_cmp_le_i32_e64 s[36:37], v189, v27                       // 000000005290: D0C30024 000237BD
	v_add_u32_e32 v189, 16, v189                               // 000000005298: 697B7A90
	s_nop 0                                                    // 00000000529C: BF800000
	v_cndmask_b32_e64 v46, v28, v46, s[36:37]                  // 0000000052A0: D100002E 00925D1C
	v_cmp_le_i32_e64 s[36:37], v190, v27                       // 0000000052A8: D0C30024 000237BE
	v_add_u32_e32 v190, 16, v190                               // 0000000052B0: 697D7C90
	s_nop 0                                                    // 0000000052B4: BF800000
	v_cndmask_b32_e64 v47, v28, v47, s[36:37]                  // 0000000052B8: D100002F 00925F1C
	v_cmp_le_i32_e64 s[36:37], v187, v27                       // 0000000052C0: D0C30024 000237BB
	v_add_u32_e32 v187, 16, v187                               // 0000000052C8: 69777690
	s_nop 0                                                    // 0000000052CC: BF800000
	v_cndmask_b32_e64 v48, v28, v48, s[36:37]                  // 0000000052D0: D1000030 0092611C
	v_cmp_le_i32_e64 s[36:37], v188, v27                       // 0000000052D8: D0C30024 000237BC
	v_add_u32_e32 v188, 16, v188                               // 0000000052E0: 69797890
	s_nop 0                                                    // 0000000052E4: BF800000
	v_cndmask_b32_e64 v49, v28, v49, s[36:37]                  // 0000000052E8: D1000031 0092631C
	v_cmp_le_i32_e64 s[36:37], v189, v27                       // 0000000052F0: D0C30024 000237BD
	v_add_u32_e32 v189, 16, v189                               // 0000000052F8: 697B7A90
	s_nop 0                                                    // 0000000052FC: BF800000
	v_cndmask_b32_e64 v50, v28, v50, s[36:37]                  // 000000005300: D1000032 0092651C
	v_cmp_le_i32_e64 s[36:37], v190, v27                       // 000000005308: D0C30024 000237BE
	v_add_u32_e32 v190, 16, v190                               // 000000005310: 697D7C90
	s_nop 0                                                    // 000000005314: BF800000
	v_cndmask_b32_e64 v51, v28, v51, s[36:37]                  // 000000005318: D1000033 0092671C

0000000000005320 <label_2F20>:
	s_add_u32 s83, s84, s83                                    // 000000005320: 80535354
	s_nop 2                                                    // 000000005324: BF800002
	v_mov_b32_e32 v28, v36                                     // 000000005328: 7E380324
	v_max3_f32 v28, v36, v37, v28                              // 00000000532C: D1D3001C 04724B24
	v_max3_f32 v28, v38, v39, v28                              // 000000005334: D1D3001C 04724F26
	v_max3_f32 v28, v40, v41, v28                              // 00000000533C: D1D3001C 04725328
	v_max3_f32 v28, v42, v43, v28                              // 000000005344: D1D3001C 0472572A
	v_max3_f32 v28, v44, v45, v28                              // 00000000534C: D1D3001C 04725B2C
	v_max3_f32 v28, v46, v47, v28                              // 000000005354: D1D3001C 04725F2E
	v_max3_f32 v28, v48, v49, v28                              // 00000000535C: D1D3001C 04726330
	v_max3_f32 v28, v50, v51, v28                              // 000000005364: D1D3001C 04726732
	v_mov_b32_e32 v27, v28                                     // 00000000536C: 7E36031C
	v_mov_b32_e32 v28, v28                                     // 000000005370: 7E38031C
	s_nop 1                                                    // 000000005374: BF800001
	v_permlane16_swap_b32_e32 v27, v28                         // 000000005378: 7E36B31C
	v_mov_b32_e32 v30, v27                                     // 00000000537C: 7E3C031B
	v_mov_b32_e32 v29, v28                                     // 000000005380: 7E3A031C
	s_nop 1                                                    // 000000005384: BF800001
	v_permlane32_swap_b32_e32 v27, v28                         // 000000005388: 7E36B51C
	v_permlane32_swap_b32_e32 v29, v30                         // 00000000538C: 7E3AB51E
	v_max3_f32 v28, v27, v28, v28                              // 000000005390: D1D3001C 0472391B
	v_max3_f32 v28, v29, v30, v28                              // 000000005398: D1D3001C 04723D1D
	v_mov_b32_e32 v27, 0xff800000                              // 0000000053A0: 7E3602FF FF800000
	v_cmp_eq_u32_e64 s[36:37], v27, v2                         // 0000000053A8: D0CA0024 0002051B
	v_max_f32_e32 v28, v28, v2                                 // 0000000053B0: 1638051C
	v_sub_f32_e32 v18, v2, v28                                 // 0000000053B4: 04243902
	v_cndmask_b32_e64 v18, v18, 0, s[36:37]                    // 0000000053B8: D1000012 00910112
	v_mov_b32_e32 v2, v28                                      // 0000000053C0: 7E04031C
	v_mul_f32_e32 v28, s5, v28                                 // 0000000053C4: 0A383805
	v_mul_f32_e32 v18, s5, v18                                 // 0000000053C8: 0A242405
	v_exp_f32_e32 v18, v18                                     // 0000000053CC: 7E244112
	v_fma_f32 v36, v36, s5, -v28                               // 0000000053D0: D1CB0024 84700B24
	v_fma_f32 v37, v37, s5, -v28                               // 0000000053D8: D1CB0025 84700B25
	v_fma_f32 v38, v38, s5, -v28                               // 0000000053E0: D1CB0026 84700B26
	v_fma_f32 v39, v39, s5, -v28                               // 0000000053E8: D1CB0027 84700B27
	v_fma_f32 v40, v40, s5, -v28                               // 0000000053F0: D1CB0028 84700B28
	v_fma_f32 v41, v41, s5, -v28                               // 0000000053F8: D1CB0029 84700B29
	v_fma_f32 v42, v42, s5, -v28                               // 000000005400: D1CB002A 84700B2A
	v_fma_f32 v43, v43, s5, -v28                               // 000000005408: D1CB002B 84700B2B
	v_fma_f32 v44, v44, s5, -v28                               // 000000005410: D1CB002C 84700B2C
	v_fma_f32 v45, v45, s5, -v28                               // 000000005418: D1CB002D 84700B2D
	v_fma_f32 v46, v46, s5, -v28                               // 000000005420: D1CB002E 84700B2E
	v_fma_f32 v47, v47, s5, -v28                               // 000000005428: D1CB002F 84700B2F
	v_fma_f32 v48, v48, s5, -v28                               // 000000005430: D1CB0030 84700B30
	v_fma_f32 v49, v49, s5, -v28                               // 000000005438: D1CB0031 84700B31
	v_fma_f32 v50, v50, s5, -v28                               // 000000005440: D1CB0032 84700B32
	v_fma_f32 v51, v51, s5, -v28                               // 000000005448: D1CB0033 84700B33
	v_exp_f32_e32 v36, v36                                     // 000000005450: 7E484124
	v_exp_f32_e32 v37, v37                                     // 000000005454: 7E4A4125
	v_exp_f32_e32 v38, v38                                     // 000000005458: 7E4C4126
	v_exp_f32_e32 v39, v39                                     // 00000000545C: 7E4E4127
	v_exp_f32_e32 v40, v40                                     // 000000005460: 7E504128
	v_exp_f32_e32 v41, v41                                     // 000000005464: 7E524129
	v_exp_f32_e32 v42, v42                                     // 000000005468: 7E54412A
	v_exp_f32_e32 v43, v43                                     // 00000000546C: 7E56412B
	v_exp_f32_e32 v44, v44                                     // 000000005470: 7E58412C
	v_exp_f32_e32 v45, v45                                     // 000000005474: 7E5A412D
	v_exp_f32_e32 v46, v46                                     // 000000005478: 7E5C412E
	v_exp_f32_e32 v47, v47                                     // 00000000547C: 7E5E412F
	v_exp_f32_e32 v48, v48                                     // 000000005480: 7E604130
	v_exp_f32_e32 v49, v49                                     // 000000005484: 7E624131
	v_exp_f32_e32 v50, v50                                     // 000000005488: 7E644132
	v_exp_f32_e32 v51, v51                                     // 00000000548C: 7E664133
	v_mul_f32_e32 v4, v18, v4                                  // 000000005490: 0A080912
	v_mov_b32_e32 v27, v36                                     // 000000005494: 7E360324
	v_add_f32_e32 v27, v37, v27                                // 000000005498: 02363725
	v_add_f32_e32 v27, v38, v27                                // 00000000549C: 02363726
	v_add_f32_e32 v27, v39, v27                                // 0000000054A0: 02363727
	v_add_f32_e32 v27, v40, v27                                // 0000000054A4: 02363728
	v_add_f32_e32 v27, v41, v27                                // 0000000054A8: 02363729
	v_add_f32_e32 v27, v42, v27                                // 0000000054AC: 0236372A
	v_add_f32_e32 v27, v43, v27                                // 0000000054B0: 0236372B
	v_add_f32_e32 v27, v44, v27                                // 0000000054B4: 0236372C
	v_add_f32_e32 v27, v45, v27                                // 0000000054B8: 0236372D
	v_add_f32_e32 v27, v46, v27                                // 0000000054BC: 0236372E
	v_add_f32_e32 v27, v47, v27                                // 0000000054C0: 0236372F
	v_add_f32_e32 v27, v48, v27                                // 0000000054C4: 02363730
	v_add_f32_e32 v27, v49, v27                                // 0000000054C8: 02363731
	v_add_f32_e32 v27, v50, v27                                // 0000000054CC: 02363732
	v_add_f32_e32 v27, v51, v27                                // 0000000054D0: 02363733
	v_add_f32_e32 v4, v27, v4                                  // 0000000054D4: 0208091B
	v_cvt_pk_fp8_f32 v36, v36, v37                             // 0000000054D8: D2A20024 00024B24
	v_cvt_pk_fp8_f32 v36, v38, v39 op_sel:[0,0,1]              // 0000000054E0: D2A24024 00024F26
	v_cvt_pk_fp8_f32 v37, v40, v41                             // 0000000054E8: D2A20025 00025328
	v_cvt_pk_fp8_f32 v37, v42, v43 op_sel:[0,0,1]              // 0000000054F0: D2A24025 0002572A
	v_cvt_pk_fp8_f32 v38, v44, v45                             // 0000000054F8: D2A20026 00025B2C
	v_cvt_pk_fp8_f32 v38, v46, v47 op_sel:[0,0,1]              // 000000005500: D2A24026 00025F2E
	v_cvt_pk_fp8_f32 v39, v48, v49                             // 000000005508: D2A20027 00026330
	v_cvt_pk_fp8_f32 v39, v50, v51 op_sel:[0,0,1]              // 000000005510: D2A24027 00026732
	s_nop 0                                                    // 000000005518: BF800000
	v_permlane16_swap_b32_e32 v36, v37                         // 00000000551C: 7E48B325
	v_permlane16_swap_b32_e32 v38, v39                         // 000000005520: 7E4CB327
	s_nop 0                                                    // 000000005524: BF800000
	v_permlane32_swap_b32_e32 v36, v38                         // 000000005528: 7E48B526
	v_permlane32_swap_b32_e32 v37, v39                         // 00000000552C: 7E4AB527
	ds_write_b128 v32, v[36:39]                                // 000000005530: D9BE0000 00002420
	s_waitcnt lgkmcnt(0)                                       // 000000005538: BF8CC07F
	s_barrier                                                  // 00000000553C: BF8A0000
	ds_read_b128 v[36:39], v33                                 // 000000005540: D9FE0000 24000021
	ds_read_b128 v[40:43], v33 offset:1024                     // 000000005548: D9FE0400 28000021
	s_waitcnt lgkmcnt(0)                                       // 000000005550: BF8CC07F
	v_permlane16_swap_b32_e32 v36, v40                         // 000000005554: 7E48B328
	v_permlane16_swap_b32_e32 v37, v41                         // 000000005558: 7E4AB329
	v_permlane16_swap_b32_e32 v38, v42                         // 00000000555C: 7E4CB32A
	v_permlane16_swap_b32_e32 v39, v43                         // 000000005560: 7E4EB32B
	v_permlane32_swap_b32_e32 v36, v40                         // 000000005564: 7E48B528
	v_permlane32_swap_b32_e32 v37, v41                         // 000000005568: 7E4AB529
	v_permlane32_swap_b32_e32 v38, v42                         // 00000000556C: 7E4CB52A
	v_permlane32_swap_b32_e32 v39, v43                         // 000000005570: 7E4EB52B
	ds_write_b32 v34, v18                                      // 000000005574: D81A0000 00001222
	s_waitcnt lgkmcnt(0)                                       // 00000000557C: BF8CC07F
	s_barrier                                                  // 000000005580: BF8A0000
	ds_read_b32 v27, v35                                       // 000000005584: D86C0000 1B000023
	s_waitcnt lgkmcnt(0)                                       // 00000000558C: BF8CC07F
	v_mul_f32_e32 v56, v27, v56                                // 000000005590: 0A70711B
	v_mul_f32_e32 v57, v27, v57                                // 000000005594: 0A72731B
	v_mul_f32_e32 v58, v27, v58                                // 000000005598: 0A74751B
	v_mul_f32_e32 v59, v27, v59                                // 00000000559C: 0A76771B
	v_mul_f32_e32 v60, v27, v60                                // 0000000055A0: 0A78791B
	v_mul_f32_e32 v61, v27, v61                                // 0000000055A4: 0A7A7B1B
	v_mul_f32_e32 v62, v27, v62                                // 0000000055A8: 0A7C7D1B
	v_mul_f32_e32 v63, v27, v63                                // 0000000055AC: 0A7E7F1B
	v_mul_f32_e32 v64, v27, v64                                // 0000000055B0: 0A80811B
	v_mul_f32_e32 v65, v27, v65                                // 0000000055B4: 0A82831B
	v_mul_f32_e32 v66, v27, v66                                // 0000000055B8: 0A84851B
	v_mul_f32_e32 v67, v27, v67                                // 0000000055BC: 0A86871B
	v_mul_f32_e32 v68, v27, v68                                // 0000000055C0: 0A88891B
	v_mul_f32_e32 v69, v27, v69                                // 0000000055C4: 0A8A8B1B
	v_mul_f32_e32 v70, v27, v70                                // 0000000055C8: 0A8C8D1B
	v_mul_f32_e32 v71, v27, v71                                // 0000000055CC: 0A8E8F1B
	v_mul_f32_e32 v72, v27, v72                                // 0000000055D0: 0A90911B
	v_mul_f32_e32 v73, v27, v73                                // 0000000055D4: 0A92931B
	v_mul_f32_e32 v74, v27, v74                                // 0000000055D8: 0A94951B
	v_mul_f32_e32 v75, v27, v75                                // 0000000055DC: 0A96971B
	v_mul_f32_e32 v76, v27, v76                                // 0000000055E0: 0A98991B
	v_mul_f32_e32 v77, v27, v77                                // 0000000055E4: 0A9A9B1B
	v_mul_f32_e32 v78, v27, v78                                // 0000000055E8: 0A9C9D1B
	v_mul_f32_e32 v79, v27, v79                                // 0000000055EC: 0A9E9F1B
	v_mul_f32_e32 v80, v27, v80                                // 0000000055F0: 0AA0A11B
	v_mul_f32_e32 v81, v27, v81                                // 0000000055F4: 0AA2A31B
	v_mul_f32_e32 v82, v27, v82                                // 0000000055F8: 0AA4A51B
	v_mul_f32_e32 v83, v27, v83                                // 0000000055FC: 0AA6A71B
	v_mul_f32_e32 v84, v27, v84                                // 000000005600: 0AA8A91B
	v_mul_f32_e32 v85, v27, v85                                // 000000005604: 0AAAAB1B
	v_mul_f32_e32 v86, v27, v86                                // 000000005608: 0AACAD1B
	v_mul_f32_e32 v87, v27, v87                                // 00000000560C: 0AAEAF1B
	v_mul_f32_e32 v88, v27, v88                                // 000000005610: 0AB0B11B
	v_mul_f32_e32 v89, v27, v89                                // 000000005614: 0AB2B31B
	v_mul_f32_e32 v90, v27, v90                                // 000000005618: 0AB4B51B
	v_mul_f32_e32 v91, v27, v91                                // 00000000561C: 0AB6B71B
	v_mul_f32_e32 v92, v27, v92                                // 000000005620: 0AB8B91B
	v_mul_f32_e32 v93, v27, v93                                // 000000005624: 0ABABB1B
	v_mul_f32_e32 v94, v27, v94                                // 000000005628: 0ABCBD1B
	v_mul_f32_e32 v95, v27, v95                                // 00000000562C: 0ABEBF1B
	v_mul_f32_e32 v96, v27, v96                                // 000000005630: 0AC0C11B
	v_mul_f32_e32 v97, v27, v97                                // 000000005634: 0AC2C31B
	v_mul_f32_e32 v98, v27, v98                                // 000000005638: 0AC4C51B
	v_mul_f32_e32 v99, v27, v99                                // 00000000563C: 0AC6C71B
	v_mul_f32_e32 v100, v27, v100                              // 000000005640: 0AC8C91B
	v_mul_f32_e32 v101, v27, v101                              // 000000005644: 0ACACB1B
	v_mul_f32_e32 v102, v27, v102                              // 000000005648: 0ACCCD1B
	v_mul_f32_e32 v103, v27, v103                              // 00000000564C: 0ACECF1B
	v_mul_f32_e32 v104, v27, v104                              // 000000005650: 0AD0D11B
	v_mul_f32_e32 v105, v27, v105                              // 000000005654: 0AD2D31B
	v_mul_f32_e32 v106, v27, v106                              // 000000005658: 0AD4D51B
	v_mul_f32_e32 v107, v27, v107                              // 00000000565C: 0AD6D71B
	v_mul_f32_e32 v108, v27, v108                              // 000000005660: 0AD8D91B
	v_mul_f32_e32 v109, v27, v109                              // 000000005664: 0ADADB1B
	v_mul_f32_e32 v110, v27, v110                              // 000000005668: 0ADCDD1B
	v_mul_f32_e32 v111, v27, v111                              // 00000000566C: 0ADEDF1B
	v_mul_f32_e32 v112, v27, v112                              // 000000005670: 0AE0E11B
	v_mul_f32_e32 v113, v27, v113                              // 000000005674: 0AE2E31B
	v_mul_f32_e32 v114, v27, v114                              // 000000005678: 0AE4E51B
	v_mul_f32_e32 v115, v27, v115                              // 00000000567C: 0AE6E71B
	v_mul_f32_e32 v116, v27, v116                              // 000000005680: 0AE8E91B
	v_mul_f32_e32 v117, v27, v117                              // 000000005684: 0AEAEB1B
	v_mul_f32_e32 v118, v27, v118                              // 000000005688: 0AECED1B
	v_mul_f32_e32 v119, v27, v119                              // 00000000568C: 0AEEEF1B
	v_mul_f32_e32 v120, v27, v120                              // 000000005690: 0AF0F11B
	v_mul_f32_e32 v121, v27, v121                              // 000000005694: 0AF2F31B
	v_mul_f32_e32 v122, v27, v122                              // 000000005698: 0AF4F51B
	v_mul_f32_e32 v123, v27, v123                              // 00000000569C: 0AF6F71B
	v_mul_f32_e32 v124, v27, v124                              // 0000000056A0: 0AF8F91B
	v_mul_f32_e32 v125, v27, v125                              // 0000000056A4: 0AFAFB1B
	v_mul_f32_e32 v126, v27, v126                              // 0000000056A8: 0AFCFD1B
	v_mul_f32_e32 v127, v27, v127                              // 0000000056AC: 0AFEFF1B
	v_mul_f32_e32 v128, v27, v128                              // 0000000056B0: 0B01011B
	v_mul_f32_e32 v129, v27, v129                              // 0000000056B4: 0B03031B
	v_mul_f32_e32 v130, v27, v130                              // 0000000056B8: 0B05051B
	v_mul_f32_e32 v131, v27, v131                              // 0000000056BC: 0B07071B
	v_mul_f32_e32 v132, v27, v132                              // 0000000056C0: 0B09091B
	v_mul_f32_e32 v133, v27, v133                              // 0000000056C4: 0B0B0B1B
	v_mul_f32_e32 v134, v27, v134                              // 0000000056C8: 0B0D0D1B
	v_mul_f32_e32 v135, v27, v135                              // 0000000056CC: 0B0F0F1B
	v_mul_f32_e32 v136, v27, v136                              // 0000000056D0: 0B11111B
	v_mul_f32_e32 v137, v27, v137                              // 0000000056D4: 0B13131B
	v_mul_f32_e32 v138, v27, v138                              // 0000000056D8: 0B15151B
	v_mul_f32_e32 v139, v27, v139                              // 0000000056DC: 0B17171B
	v_mul_f32_e32 v140, v27, v140                              // 0000000056E0: 0B19191B
	v_mul_f32_e32 v141, v27, v141                              // 0000000056E4: 0B1B1B1B
	v_mul_f32_e32 v142, v27, v142                              // 0000000056E8: 0B1D1D1B
	v_mul_f32_e32 v143, v27, v143                              // 0000000056EC: 0B1F1F1B
	v_mul_f32_e32 v144, v27, v144                              // 0000000056F0: 0B21211B
	v_mul_f32_e32 v145, v27, v145                              // 0000000056F4: 0B23231B
	v_mul_f32_e32 v146, v27, v146                              // 0000000056F8: 0B25251B
	v_mul_f32_e32 v147, v27, v147                              // 0000000056FC: 0B27271B
	v_mul_f32_e32 v148, v27, v148                              // 000000005700: 0B29291B
	v_mul_f32_e32 v149, v27, v149                              // 000000005704: 0B2B2B1B
	v_mul_f32_e32 v150, v27, v150                              // 000000005708: 0B2D2D1B
	v_mul_f32_e32 v151, v27, v151                              // 00000000570C: 0B2F2F1B
	v_mul_f32_e32 v152, v27, v152                              // 000000005710: 0B31311B
	v_mul_f32_e32 v153, v27, v153                              // 000000005714: 0B33331B
	v_mul_f32_e32 v154, v27, v154                              // 000000005718: 0B35351B
	v_mul_f32_e32 v155, v27, v155                              // 00000000571C: 0B37371B
	v_mul_f32_e32 v156, v27, v156                              // 000000005720: 0B39391B
	v_mul_f32_e32 v157, v27, v157                              // 000000005724: 0B3B3B1B
	v_mul_f32_e32 v158, v27, v158                              // 000000005728: 0B3D3D1B
	v_mul_f32_e32 v159, v27, v159                              // 00000000572C: 0B3F3F1B
	v_mul_f32_e32 v160, v27, v160                              // 000000005730: 0B41411B
	v_mul_f32_e32 v161, v27, v161                              // 000000005734: 0B43431B
	v_mul_f32_e32 v162, v27, v162                              // 000000005738: 0B45451B
	v_mul_f32_e32 v163, v27, v163                              // 00000000573C: 0B47471B
	v_mul_f32_e32 v164, v27, v164                              // 000000005740: 0B49491B
	v_mul_f32_e32 v165, v27, v165                              // 000000005744: 0B4B4B1B
	v_mul_f32_e32 v166, v27, v166                              // 000000005748: 0B4D4D1B
	v_mul_f32_e32 v167, v27, v167                              // 00000000574C: 0B4F4F1B
	v_mul_f32_e32 v168, v27, v168                              // 000000005750: 0B51511B
	v_mul_f32_e32 v169, v27, v169                              // 000000005754: 0B53531B
	v_mul_f32_e32 v170, v27, v170                              // 000000005758: 0B55551B
	v_mul_f32_e32 v171, v27, v171                              // 00000000575C: 0B57571B
	v_mul_f32_e32 v172, v27, v172                              // 000000005760: 0B59591B
	v_mul_f32_e32 v173, v27, v173                              // 000000005764: 0B5B5B1B
	v_mul_f32_e32 v174, v27, v174                              // 000000005768: 0B5D5D1B
	v_mul_f32_e32 v175, v27, v175                              // 00000000576C: 0B5F5F1B
	v_mul_f32_e32 v176, v27, v176                              // 000000005770: 0B61611B
	v_mul_f32_e32 v177, v27, v177                              // 000000005774: 0B63631B
	v_mul_f32_e32 v178, v27, v178                              // 000000005778: 0B65651B
	v_mul_f32_e32 v179, v27, v179                              // 00000000577C: 0B67671B
	v_mul_f32_e32 v180, v27, v180                              // 000000005780: 0B69691B
	v_mul_f32_e32 v181, v27, v181                              // 000000005784: 0B6B6B1B
	v_mul_f32_e32 v182, v27, v182                              // 000000005788: 0B6D6D1B
	v_mul_f32_e32 v183, v27, v183                              // 00000000578C: 0B6F6F1B
	s_waitcnt lgkmcnt(0)                                       // 000000005790: BF8CC07F
	v_mfma_f32_32x32x64_f8f6f4 v[56:71], a[120:127], v[36:43], v[56:71]// 000000005794: D3AE0038 0CE24978
	v_mfma_f32_32x32x64_f8f6f4 v[72:87], a[128:135], v[36:43], v[72:87]// 00000000579C: D3AE0048 0D224980
	v_mfma_f32_32x32x64_f8f6f4 v[88:103], a[136:143], v[36:43], v[88:103]// 0000000057A4: D3AE0058 0D624988
	v_mfma_f32_32x32x64_f8f6f4 v[104:119], a[144:151], v[36:43], v[104:119]// 0000000057AC: D3AE0068 0DA24990
	v_mfma_f32_32x32x64_f8f6f4 v[120:135], a[152:159], v[36:43], v[120:135]// 0000000057B4: D3AE0078 0DE24998
	v_mfma_f32_32x32x64_f8f6f4 v[136:151], a[160:167], v[36:43], v[136:151]// 0000000057BC: D3AE0088 0E2249A0
	v_mfma_f32_32x32x64_f8f6f4 v[152:167], a[168:175], v[36:43], v[152:167]// 0000000057C4: D3AE0098 0E6249A8
	v_mfma_f32_32x32x64_f8f6f4 v[168:183], a[176:183], v[36:43], v[168:183]// 0000000057CC: D3AE00A8 0EA249B0
	s_waitcnt lgkmcnt(0)                                       // 0000000057D4: BF8CC07F
	s_waitcnt vmcnt(10)                                        // 0000000057D8: BF8C0F7A
	s_barrier                                                  // 0000000057DC: BF8A0000
	ds_read_b128 a[40:43], v22                                 // 0000000057E0: DBFE0000 28000016
	ds_read_b128 a[44:47], v22 offset:1024                     // 0000000057E8: DBFE0400 2C000016
	ds_read_b128 a[48:51], v22 offset:2048                     // 0000000057F0: DBFE0800 30000016
	ds_read_b128 a[52:55], v22 offset:3072                     // 0000000057F8: DBFE0C00 34000016
	ds_read_b128 a[56:59], v22 offset:4096                     // 000000005800: DBFE1000 38000016
	ds_read_b128 a[60:63], v22 offset:5120                     // 000000005808: DBFE1400 3C000016
	ds_read_b128 a[64:67], v22 offset:6144                     // 000000005810: DBFE1800 40000016
	ds_read_b128 a[68:71], v22 offset:7168                     // 000000005818: DBFE1C00 44000016
	ds_read_b128 a[72:75], v22 offset:8192                     // 000000005820: DBFE2000 48000016
	ds_read_b128 a[80:83], v22 offset:9216                     // 000000005828: DBFE2400 50000016
	ds_read_b128 a[84:87], v22 offset:10240                    // 000000005830: DBFE2800 54000016
	ds_read_b128 a[88:91], v22 offset:11264                    // 000000005838: DBFE2C00 58000016
	ds_read_b128 a[92:95], v22 offset:12288                    // 000000005840: DBFE3000 5C000016
	ds_read_b128 a[96:99], v22 offset:13312                    // 000000005848: DBFE3400 60000016
	ds_read_b128 a[100:103], v22 offset:14336                  // 000000005850: DBFE3800 64000016
	ds_read_b128 a[104:107], v22 offset:15360                  // 000000005858: DBFE3C00 68000016
	ds_read_b128 a[108:111], v22 offset:16384                  // 000000005860: DBFE4000 6C000016
	ds_read_b128 a[112:115], v22 offset:17408                  // 000000005868: DBFE4400 70000016
	s_addk_i32 s70, 0x1                                        // 000000005870: B7460001
	s_cmp_lt_i32 s70, s71                                      // 000000005874: BF044746
	s_cbranch_scc0 label_2A68                                  // 000000005878: BF84FD7B
	s_waitcnt lgkmcnt(4)                                       // 00000000587C: BF8CC47F
	v_mfma_f32_16x16x128_f8f6f4 v[36:39], a[40:47], a[0:7], 0  // 000000005880: D3AD0024 1A020128
	v_mul_u32_u24_e64 v30, v23, s68                            // 000000005888: D108001E 00008917
	v_add_u32_e32 v30, v30, v1                                 // 000000005890: 683C031E
	buffer_load_dword v25, v26, s[24:27], 0 offen              // 000000005894: E0501000 8006191A
	ds_read_b128 a[40:43], v22 offset:18432                    // 00000000589C: DBFE4800 28000016
	v_mfma_f32_16x16x128_f8f6f4 v[36:39], a[48:55], a[8:15], v[36:39]// 0000000058A4: D3AD0024 1C921130
	s_mov_b32 s56, 0x14000                                     // 0000000058AC: BEB800FF 00014000
	s_mul_i32 s57, s7, 0x2400                                  // 0000000058B4: 9239FF07 00002400
	s_add_u32 m0, s56, s57                                     // 0000000058BC: 807C3938
	buffer_load_dwordx4 v30, s[20:23], 0 offen lds             // 0000000058C0: E05D1000 8005001E
	s_add_i32 m0, m0, 0x3c0                                    // 0000000058C8: 817CFF7C 000003C0
	v_mfma_f32_16x16x128_f8f6f4 v[36:39], a[56:63], a[16:23], v[36:39]// 0000000058D0: D3AD0024 1C922138
	ds_read_b128 a[44:47], v22 offset:19456                    // 0000000058D8: DBFE4C00 2C000016
	v_mfma_f32_16x16x128_f8f6f4 v[36:39], a[64:71], a[24:31], v[36:39]// 0000000058E0: D3AD0024 1C923140
	buffer_load_dwordx4 v30, s[20:23], 0 offen offset:64 lds   // 0000000058E8: E05D1040 8005001E
	s_add_i32 m0, m0, 0x3c0                                    // 0000000058F0: 817CFF7C 000003C0
	v_mfma_f32_16x16x128_f8f6f4 v[36:39], a[72:79], a[32:39], v[36:39]// 0000000058F8: D3AD0024 1C924148
	ds_read_b128 a[48:51], v22 offset:20480                    // 000000005900: DBFE5000 30000016
	v_mfma_f32_16x16x128_f8f6f4 v[40:43], a[80:87], a[0:7], 0  // 000000005908: D3AD0028 1A020150
	buffer_load_dwordx4 v30, s[20:23], 0 offen offset:128 lds  // 000000005910: E05D1080 8005001E
	s_add_i32 m0, m0, 0x3c0                                    // 000000005918: 817CFF7C 000003C0
	v_mfma_f32_16x16x128_f8f6f4 v[40:43], a[88:95], a[8:15], v[40:43]// 000000005920: D3AD0028 1CA21158
	ds_read_b128 a[52:55], v22 offset:21504                    // 000000005928: DBFE5400 34000016
	v_mfma_f32_16x16x128_f8f6f4 v[40:43], a[96:103], a[16:23], v[40:43]// 000000005930: D3AD0028 1CA22160
	buffer_load_dwordx4 v30, s[20:23], 0 offen offset:192 lds  // 000000005938: E05D10C0 8005001E
	s_add_i32 m0, m0, 0x3c0                                    // 000000005940: 817CFF7C 000003C0
	v_mfma_f32_16x16x128_f8f6f4 v[40:43], a[104:111], a[24:31], v[40:43]// 000000005948: D3AD0028 1CA23168
	ds_read_b128 a[56:59], v22 offset:22528                    // 000000005950: DBFE5800 38000016
	v_mfma_f32_16x16x128_f8f6f4 v[40:43], a[112:119], a[32:39], v[40:43]// 000000005958: D3AD0028 1CA24170
	buffer_load_dwordx4 v30, s[20:23], 0 offen offset:256 lds  // 000000005960: E05D1100 8005001E
	s_add_i32 m0, m0, 0x3c0                                    // 000000005968: 817CFF7C 000003C0
	buffer_load_dwordx4 v30, s[20:23], 0 offen offset:320 lds  // 000000005970: E05D1140 8005001E
	s_add_i32 m0, m0, 0x3c0                                    // 000000005978: 817CFF7C 000003C0
	buffer_load_dwordx4 v30, s[20:23], 0 offen offset:384 lds  // 000000005980: E05D1180 8005001E
	s_add_i32 m0, m0, 0x3c0                                    // 000000005988: 817CFF7C 000003C0
	buffer_load_dwordx4 v30, s[20:23], 0 offen offset:448 lds  // 000000005990: E05D11C0 8005001E
	s_add_i32 m0, m0, 0x3c0                                    // 000000005998: 817CFF7C 000003C0
	buffer_load_dwordx4 v30, s[20:23], 0 offen offset:512 lds  // 0000000059A0: E05D1200 8005001E
	s_add_i32 m0, m0, 0x3c0                                    // 0000000059A8: 817CFF7C 000003C0
	ds_read_b128 a[60:63], v22 offset:23552                    // 0000000059B0: DBFE5C00 3C000016
	ds_read_b128 a[64:67], v22 offset:24576                    // 0000000059B8: DBFE6000 40000016
	ds_read_b128 a[68:71], v22 offset:25600                    // 0000000059C0: DBFE6400 44000016
	ds_read_b128 a[72:75], v22 offset:26624                    // 0000000059C8: DBFE6800 48000016
	ds_read_b128 a[80:83], v22 offset:27648                    // 0000000059D0: DBFE6C00 50000016
	ds_read_b128 a[84:87], v22 offset:28672                    // 0000000059D8: DBFE7000 54000016
	ds_read_b128 a[88:91], v22 offset:29696                    // 0000000059E0: DBFE7400 58000016
	ds_read_b128 a[92:95], v22 offset:30720                    // 0000000059E8: DBFE7800 5C000016
	ds_read_b128 a[96:99], v22 offset:31744                    // 0000000059F0: DBFE7C00 60000016
	ds_read_b128 a[100:103], v22 offset:32768                  // 0000000059F8: DBFE8000 64000016
	ds_read_b128 a[104:107], v22 offset:33792                  // 000000005A00: DBFE8400 68000016
	ds_read_b128 a[108:111], v22 offset:34816                  // 000000005A08: DBFE8800 6C000016
	ds_read_b128 a[112:115], v22 offset:35840                  // 000000005A10: DBFE8C00 70000016
	v_add_u32_e32 v26, s73, v26                                // 000000005A18: 68343449
	s_waitcnt lgkmcnt(4)                                       // 000000005A1C: BF8CC47F
	v_mfma_f32_16x16x128_f8f6f4 v[44:47], a[40:47], a[0:7], 0  // 000000005A20: D3AD002C 1A020128
	ds_read_b64_tr_b8 a[120:121], v14                          // 000000005A28: DBC40000 7800000E
	ds_read_b64_tr_b8 a[122:123], v15                          // 000000005A30: DBC40000 7A00000F
	ds_read_b64_tr_b8 a[124:125], v14 offset:18432             // 000000005A38: DBC44800 7C00000E
	ds_read_b64_tr_b8 a[126:127], v15 offset:18432             // 000000005A40: DBC44800 7E00000F
	v_mfma_f32_16x16x128_f8f6f4 v[44:47], a[48:55], a[8:15], v[44:47]// 000000005A48: D3AD002C 1CB21130
	v_mfma_f32_16x16x128_f8f6f4 v[44:47], a[56:63], a[16:23], v[44:47]// 000000005A50: D3AD002C 1CB22138
	ds_read_b64_tr_b8 a[128:129], v16                          // 000000005A58: DBC40000 80000010
	ds_read_b64_tr_b8 a[130:131], v17                          // 000000005A60: DBC40000 82000011
	ds_read_b64_tr_b8 a[132:133], v16 offset:18432             // 000000005A68: DBC44800 84000010
	ds_read_b64_tr_b8 a[134:135], v17 offset:18432             // 000000005A70: DBC44800 86000011
	v_mfma_f32_16x16x128_f8f6f4 v[44:47], a[64:71], a[24:31], v[44:47]// 000000005A78: D3AD002C 1CB23140
	v_mfma_f32_16x16x128_f8f6f4 v[44:47], a[72:79], a[32:39], v[44:47]// 000000005A80: D3AD002C 1CB24148
	ds_read_b64_tr_b8 a[136:137], v14 offset:1024              // 000000005A88: DBC40400 8800000E
	ds_read_b64_tr_b8 a[138:139], v15 offset:1024              // 000000005A90: DBC40400 8A00000F
	ds_read_b64_tr_b8 a[140:141], v14 offset:19456             // 000000005A98: DBC44C00 8C00000E
	ds_read_b64_tr_b8 a[142:143], v15 offset:19456             // 000000005AA0: DBC44C00 8E00000F
	v_mfma_f32_16x16x128_f8f6f4 v[48:51], a[80:87], a[0:7], 0  // 000000005AA8: D3AD0030 1A020150
	v_mfma_f32_16x16x128_f8f6f4 v[48:51], a[88:95], a[8:15], v[48:51]// 000000005AB0: D3AD0030 1CC21158
	ds_read_b64_tr_b8 a[144:145], v16 offset:1024              // 000000005AB8: DBC40400 90000010
	ds_read_b64_tr_b8 a[146:147], v17 offset:1024              // 000000005AC0: DBC40400 92000011
	ds_read_b64_tr_b8 a[148:149], v16 offset:19456             // 000000005AC8: DBC44C00 94000010
	ds_read_b64_tr_b8 a[150:151], v17 offset:19456             // 000000005AD0: DBC44C00 96000011
	v_mfma_f32_16x16x128_f8f6f4 v[48:51], a[96:103], a[16:23], v[48:51]// 000000005AD8: D3AD0030 1CC22160
	v_mfma_f32_16x16x128_f8f6f4 v[48:51], a[104:111], a[24:31], v[48:51]// 000000005AE0: D3AD0030 1CC23168
	ds_read_b64_tr_b8 a[152:153], v14 offset:2048              // 000000005AE8: DBC40800 9800000E
	ds_read_b64_tr_b8 a[154:155], v15 offset:2048              // 000000005AF0: DBC40800 9A00000F
	ds_read_b64_tr_b8 a[156:157], v14 offset:20480             // 000000005AF8: DBC45000 9C00000E
	ds_read_b64_tr_b8 a[158:159], v15 offset:20480             // 000000005B00: DBC45000 9E00000F
	v_mfma_f32_16x16x128_f8f6f4 v[48:51], a[112:119], a[32:39], v[48:51]// 000000005B08: D3AD0030 1CC24170
	ds_read_b64_tr_b8 a[160:161], v16 offset:2048              // 000000005B10: DBC40800 A0000010
	ds_read_b64_tr_b8 a[162:163], v17 offset:2048              // 000000005B18: DBC40800 A2000011
	ds_read_b64_tr_b8 a[164:165], v16 offset:20480             // 000000005B20: DBC45000 A4000010
	ds_read_b64_tr_b8 a[166:167], v17 offset:20480             // 000000005B28: DBC45000 A6000011
	ds_read_b64_tr_b8 a[168:169], v14 offset:3072              // 000000005B30: DBC40C00 A800000E
	ds_read_b64_tr_b8 a[170:171], v15 offset:3072              // 000000005B38: DBC40C00 AA00000F
	ds_read_b64_tr_b8 a[172:173], v14 offset:21504             // 000000005B40: DBC45400 AC00000E
	ds_read_b64_tr_b8 a[174:175], v15 offset:21504             // 000000005B48: DBC45400 AE00000F
	ds_read_b64_tr_b8 a[176:177], v16 offset:3072              // 000000005B50: DBC40C00 B0000010
	ds_read_b64_tr_b8 a[178:179], v17 offset:3072              // 000000005B58: DBC40C00 B2000011
	ds_read_b64_tr_b8 a[180:181], v16 offset:21504             // 000000005B60: DBC45400 B4000010
	ds_read_b64_tr_b8 a[182:183], v17 offset:21504             // 000000005B68: DBC45400 B6000011
	s_cmp_le_i32 s83, s82                                      // 000000005B70: BF055253
	s_cbranch_scc1 label_3928                                  // 000000005B74: BF85006C
	v_mov_b32_e32 v27, s82                                     // 000000005B78: 7E360252
	v_add_i32 v27, s7, v27                                     // 000000005B7C: D29C001B 00023607
	s_sub_u32 s56, s83, 63                                     // 000000005B84: 80B8BF53
	v_lshrrev_b32_e32 v187, 4, v0                              // 000000005B88: 21760084
	v_mul_i32_i24_e32 v187, 4, v187                            // 000000005B8C: 0D777684
	v_add_u32_e32 v187, s56, v187                              // 000000005B90: 69777638
	v_add_u32_e32 v188, 1, v187                                // 000000005B94: 69797681
	v_add_u32_e32 v189, 2, v187                                // 000000005B98: 697B7682
	v_add_u32_e32 v190, 3, v187                                // 000000005B9C: 697D7683
	v_mov_b32_e32 v28, 0xff800000                              // 000000005BA0: 7E3802FF FF800000
	v_cmp_le_i32_e64 s[36:37], v187, v27                       // 000000005BA8: D0C30024 000237BB
	v_add_u32_e32 v187, 16, v187                               // 000000005BB0: 69777690
	s_nop 0                                                    // 000000005BB4: BF800000
	v_cndmask_b32_e64 v36, v28, v36, s[36:37]                  // 000000005BB8: D1000024 0092491C
	v_cmp_le_i32_e64 s[36:37], v188, v27                       // 000000005BC0: D0C30024 000237BC
	v_add_u32_e32 v188, 16, v188                               // 000000005BC8: 69797890
	s_nop 0                                                    // 000000005BCC: BF800000
	v_cndmask_b32_e64 v37, v28, v37, s[36:37]                  // 000000005BD0: D1000025 00924B1C
	v_cmp_le_i32_e64 s[36:37], v189, v27                       // 000000005BD8: D0C30024 000237BD
	v_add_u32_e32 v189, 16, v189                               // 000000005BE0: 697B7A90
	s_nop 0                                                    // 000000005BE4: BF800000
	v_cndmask_b32_e64 v38, v28, v38, s[36:37]                  // 000000005BE8: D1000026 00924D1C
	v_cmp_le_i32_e64 s[36:37], v190, v27                       // 000000005BF0: D0C30024 000237BE
	v_add_u32_e32 v190, 16, v190                               // 000000005BF8: 697D7C90
	s_nop 0                                                    // 000000005BFC: BF800000
	v_cndmask_b32_e64 v39, v28, v39, s[36:37]                  // 000000005C00: D1000027 00924F1C
	v_cmp_le_i32_e64 s[36:37], v187, v27                       // 000000005C08: D0C30024 000237BB
	v_add_u32_e32 v187, 16, v187                               // 000000005C10: 69777690
	s_nop 0                                                    // 000000005C14: BF800000
	v_cndmask_b32_e64 v40, v28, v40, s[36:37]                  // 000000005C18: D1000028 0092511C
	v_cmp_le_i32_e64 s[36:37], v188, v27                       // 000000005C20: D0C30024 000237BC
	v_add_u32_e32 v188, 16, v188                               // 000000005C28: 69797890
	s_nop 0                                                    // 000000005C2C: BF800000
	v_cndmask_b32_e64 v41, v28, v41, s[36:37]                  // 000000005C30: D1000029 0092531C
	v_cmp_le_i32_e64 s[36:37], v189, v27                       // 000000005C38: D0C30024 000237BD
	v_add_u32_e32 v189, 16, v189                               // 000000005C40: 697B7A90
	s_nop 0                                                    // 000000005C44: BF800000
	v_cndmask_b32_e64 v42, v28, v42, s[36:37]                  // 000000005C48: D100002A 0092551C
	v_cmp_le_i32_e64 s[36:37], v190, v27                       // 000000005C50: D0C30024 000237BE
	v_add_u32_e32 v190, 16, v190                               // 000000005C58: 697D7C90
	s_nop 0                                                    // 000000005C5C: BF800000
	v_cndmask_b32_e64 v43, v28, v43, s[36:37]                  // 000000005C60: D100002B 0092571C
	v_cmp_le_i32_e64 s[36:37], v187, v27                       // 000000005C68: D0C30024 000237BB
	v_add_u32_e32 v187, 16, v187                               // 000000005C70: 69777690
	s_nop 0                                                    // 000000005C74: BF800000
	v_cndmask_b32_e64 v44, v28, v44, s[36:37]                  // 000000005C78: D100002C 0092591C
	v_cmp_le_i32_e64 s[36:37], v188, v27                       // 000000005C80: D0C30024 000237BC
	v_add_u32_e32 v188, 16, v188                               // 000000005C88: 69797890
	s_nop 0                                                    // 000000005C8C: BF800000
	v_cndmask_b32_e64 v45, v28, v45, s[36:37]                  // 000000005C90: D100002D 00925B1C
	v_cmp_le_i32_e64 s[36:37], v189, v27                       // 000000005C98: D0C30024 000237BD
	v_add_u32_e32 v189, 16, v189                               // 000000005CA0: 697B7A90
	s_nop 0                                                    // 000000005CA4: BF800000
	v_cndmask_b32_e64 v46, v28, v46, s[36:37]                  // 000000005CA8: D100002E 00925D1C
	v_cmp_le_i32_e64 s[36:37], v190, v27                       // 000000005CB0: D0C30024 000237BE
	v_add_u32_e32 v190, 16, v190                               // 000000005CB8: 697D7C90
	s_nop 0                                                    // 000000005CBC: BF800000
	v_cndmask_b32_e64 v47, v28, v47, s[36:37]                  // 000000005CC0: D100002F 00925F1C
	v_cmp_le_i32_e64 s[36:37], v187, v27                       // 000000005CC8: D0C30024 000237BB
	v_add_u32_e32 v187, 16, v187                               // 000000005CD0: 69777690
	s_nop 0                                                    // 000000005CD4: BF800000
	v_cndmask_b32_e64 v48, v28, v48, s[36:37]                  // 000000005CD8: D1000030 0092611C
	v_cmp_le_i32_e64 s[36:37], v188, v27                       // 000000005CE0: D0C30024 000237BC
	v_add_u32_e32 v188, 16, v188                               // 000000005CE8: 69797890
	s_nop 0                                                    // 000000005CEC: BF800000
	v_cndmask_b32_e64 v49, v28, v49, s[36:37]                  // 000000005CF0: D1000031 0092631C
	v_cmp_le_i32_e64 s[36:37], v189, v27                       // 000000005CF8: D0C30024 000237BD
	v_add_u32_e32 v189, 16, v189                               // 000000005D00: 697B7A90
	s_nop 0                                                    // 000000005D04: BF800000
	v_cndmask_b32_e64 v50, v28, v50, s[36:37]                  // 000000005D08: D1000032 0092651C
	v_cmp_le_i32_e64 s[36:37], v190, v27                       // 000000005D10: D0C30024 000237BE
	v_add_u32_e32 v190, 16, v190                               // 000000005D18: 697D7C90
	s_nop 0                                                    // 000000005D1C: BF800000
	v_cndmask_b32_e64 v51, v28, v51, s[36:37]                  // 000000005D20: D1000033 0092671C

0000000000005d28 <label_3928>:
	s_add_u32 s83, s84, s83                                    // 000000005D28: 80535354
	s_nop 2                                                    // 000000005D2C: BF800002
	v_mov_b32_e32 v28, v36                                     // 000000005D30: 7E380324
	v_max3_f32 v28, v36, v37, v28                              // 000000005D34: D1D3001C 04724B24
	v_max3_f32 v28, v38, v39, v28                              // 000000005D3C: D1D3001C 04724F26
	v_max3_f32 v28, v40, v41, v28                              // 000000005D44: D1D3001C 04725328
	v_max3_f32 v28, v42, v43, v28                              // 000000005D4C: D1D3001C 0472572A
	v_max3_f32 v28, v44, v45, v28                              // 000000005D54: D1D3001C 04725B2C
	v_max3_f32 v28, v46, v47, v28                              // 000000005D5C: D1D3001C 04725F2E
	v_max3_f32 v28, v48, v49, v28                              // 000000005D64: D1D3001C 04726330
	v_max3_f32 v28, v50, v51, v28                              // 000000005D6C: D1D3001C 04726732
	v_mov_b32_e32 v27, v28                                     // 000000005D74: 7E36031C
	v_mov_b32_e32 v28, v28                                     // 000000005D78: 7E38031C
	s_nop 1                                                    // 000000005D7C: BF800001
	v_permlane16_swap_b32_e32 v27, v28                         // 000000005D80: 7E36B31C
	v_mov_b32_e32 v30, v27                                     // 000000005D84: 7E3C031B
	v_mov_b32_e32 v29, v28                                     // 000000005D88: 7E3A031C
	s_nop 1                                                    // 000000005D8C: BF800001
	v_permlane32_swap_b32_e32 v27, v28                         // 000000005D90: 7E36B51C
	v_permlane32_swap_b32_e32 v29, v30                         // 000000005D94: 7E3AB51E
	v_max3_f32 v28, v27, v28, v28                              // 000000005D98: D1D3001C 0472391B
	v_max3_f32 v28, v29, v30, v28                              // 000000005DA0: D1D3001C 04723D1D
	v_mov_b32_e32 v27, 0xff800000                              // 000000005DA8: 7E3602FF FF800000
	v_cmp_eq_u32_e64 s[36:37], v27, v2                         // 000000005DB0: D0CA0024 0002051B
	v_max_f32_e32 v28, v28, v2                                 // 000000005DB8: 1638051C
	v_sub_f32_e32 v18, v2, v28                                 // 000000005DBC: 04243902
	v_cndmask_b32_e64 v18, v18, 0, s[36:37]                    // 000000005DC0: D1000012 00910112
	v_mov_b32_e32 v2, v28                                      // 000000005DC8: 7E04031C
	v_mul_f32_e32 v28, s5, v28                                 // 000000005DCC: 0A383805
	v_mul_f32_e32 v18, s5, v18                                 // 000000005DD0: 0A242405
	v_exp_f32_e32 v18, v18                                     // 000000005DD4: 7E244112
	v_fma_f32 v36, v36, s5, -v28                               // 000000005DD8: D1CB0024 84700B24
	v_fma_f32 v37, v37, s5, -v28                               // 000000005DE0: D1CB0025 84700B25
	v_fma_f32 v38, v38, s5, -v28                               // 000000005DE8: D1CB0026 84700B26
	v_fma_f32 v39, v39, s5, -v28                               // 000000005DF0: D1CB0027 84700B27
	v_fma_f32 v40, v40, s5, -v28                               // 000000005DF8: D1CB0028 84700B28
	v_fma_f32 v41, v41, s5, -v28                               // 000000005E00: D1CB0029 84700B29
	v_fma_f32 v42, v42, s5, -v28                               // 000000005E08: D1CB002A 84700B2A
	v_fma_f32 v43, v43, s5, -v28                               // 000000005E10: D1CB002B 84700B2B
	v_fma_f32 v44, v44, s5, -v28                               // 000000005E18: D1CB002C 84700B2C
	v_fma_f32 v45, v45, s5, -v28                               // 000000005E20: D1CB002D 84700B2D
	v_fma_f32 v46, v46, s5, -v28                               // 000000005E28: D1CB002E 84700B2E
	v_fma_f32 v47, v47, s5, -v28                               // 000000005E30: D1CB002F 84700B2F
	v_fma_f32 v48, v48, s5, -v28                               // 000000005E38: D1CB0030 84700B30
	v_fma_f32 v49, v49, s5, -v28                               // 000000005E40: D1CB0031 84700B31
	v_fma_f32 v50, v50, s5, -v28                               // 000000005E48: D1CB0032 84700B32
	v_fma_f32 v51, v51, s5, -v28                               // 000000005E50: D1CB0033 84700B33
	v_exp_f32_e32 v36, v36                                     // 000000005E58: 7E484124
	v_exp_f32_e32 v37, v37                                     // 000000005E5C: 7E4A4125
	v_exp_f32_e32 v38, v38                                     // 000000005E60: 7E4C4126
	v_exp_f32_e32 v39, v39                                     // 000000005E64: 7E4E4127
	v_exp_f32_e32 v40, v40                                     // 000000005E68: 7E504128
	v_exp_f32_e32 v41, v41                                     // 000000005E6C: 7E524129
	v_exp_f32_e32 v42, v42                                     // 000000005E70: 7E54412A
	v_exp_f32_e32 v43, v43                                     // 000000005E74: 7E56412B
	v_exp_f32_e32 v44, v44                                     // 000000005E78: 7E58412C
	v_exp_f32_e32 v45, v45                                     // 000000005E7C: 7E5A412D
	v_exp_f32_e32 v46, v46                                     // 000000005E80: 7E5C412E
	v_exp_f32_e32 v47, v47                                     // 000000005E84: 7E5E412F
	v_exp_f32_e32 v48, v48                                     // 000000005E88: 7E604130
	v_exp_f32_e32 v49, v49                                     // 000000005E8C: 7E624131
	v_exp_f32_e32 v50, v50                                     // 000000005E90: 7E644132
	v_exp_f32_e32 v51, v51                                     // 000000005E94: 7E664133
	v_mul_f32_e32 v4, v18, v4                                  // 000000005E98: 0A080912
	v_mov_b32_e32 v27, v36                                     // 000000005E9C: 7E360324
	v_add_f32_e32 v27, v37, v27                                // 000000005EA0: 02363725
	v_add_f32_e32 v27, v38, v27                                // 000000005EA4: 02363726
	v_add_f32_e32 v27, v39, v27                                // 000000005EA8: 02363727
	v_add_f32_e32 v27, v40, v27                                // 000000005EAC: 02363728
	v_add_f32_e32 v27, v41, v27                                // 000000005EB0: 02363729
	v_add_f32_e32 v27, v42, v27                                // 000000005EB4: 0236372A
	v_add_f32_e32 v27, v43, v27                                // 000000005EB8: 0236372B
	v_add_f32_e32 v27, v44, v27                                // 000000005EBC: 0236372C
	v_add_f32_e32 v27, v45, v27                                // 000000005EC0: 0236372D
	v_add_f32_e32 v27, v46, v27                                // 000000005EC4: 0236372E
	v_add_f32_e32 v27, v47, v27                                // 000000005EC8: 0236372F
	v_add_f32_e32 v27, v48, v27                                // 000000005ECC: 02363730
	v_add_f32_e32 v27, v49, v27                                // 000000005ED0: 02363731
	v_add_f32_e32 v27, v50, v27                                // 000000005ED4: 02363732
	v_add_f32_e32 v27, v51, v27                                // 000000005ED8: 02363733
	v_add_f32_e32 v4, v27, v4                                  // 000000005EDC: 0208091B
	v_cvt_pk_fp8_f32 v36, v36, v37                             // 000000005EE0: D2A20024 00024B24
	v_cvt_pk_fp8_f32 v36, v38, v39 op_sel:[0,0,1]              // 000000005EE8: D2A24024 00024F26
	v_cvt_pk_fp8_f32 v37, v40, v41                             // 000000005EF0: D2A20025 00025328
	v_cvt_pk_fp8_f32 v37, v42, v43 op_sel:[0,0,1]              // 000000005EF8: D2A24025 0002572A
	v_cvt_pk_fp8_f32 v38, v44, v45                             // 000000005F00: D2A20026 00025B2C
	v_cvt_pk_fp8_f32 v38, v46, v47 op_sel:[0,0,1]              // 000000005F08: D2A24026 00025F2E
	v_cvt_pk_fp8_f32 v39, v48, v49                             // 000000005F10: D2A20027 00026330
	v_cvt_pk_fp8_f32 v39, v50, v51 op_sel:[0,0,1]              // 000000005F18: D2A24027 00026732
	s_nop 0                                                    // 000000005F20: BF800000
	v_permlane16_swap_b32_e32 v36, v37                         // 000000005F24: 7E48B325
	v_permlane16_swap_b32_e32 v38, v39                         // 000000005F28: 7E4CB327
	s_nop 0                                                    // 000000005F2C: BF800000
	v_permlane32_swap_b32_e32 v36, v38                         // 000000005F30: 7E48B526
	v_permlane32_swap_b32_e32 v37, v39                         // 000000005F34: 7E4AB527
	ds_write_b128 v32, v[36:39]                                // 000000005F38: D9BE0000 00002420
	s_waitcnt lgkmcnt(0)                                       // 000000005F40: BF8CC07F
	s_barrier                                                  // 000000005F44: BF8A0000
	ds_read_b128 v[36:39], v33                                 // 000000005F48: D9FE0000 24000021
	ds_read_b128 v[40:43], v33 offset:1024                     // 000000005F50: D9FE0400 28000021
	s_waitcnt lgkmcnt(0)                                       // 000000005F58: BF8CC07F
	v_permlane16_swap_b32_e32 v36, v40                         // 000000005F5C: 7E48B328
	v_permlane16_swap_b32_e32 v37, v41                         // 000000005F60: 7E4AB329
	v_permlane16_swap_b32_e32 v38, v42                         // 000000005F64: 7E4CB32A
	v_permlane16_swap_b32_e32 v39, v43                         // 000000005F68: 7E4EB32B
	v_permlane32_swap_b32_e32 v36, v40                         // 000000005F6C: 7E48B528
	v_permlane32_swap_b32_e32 v37, v41                         // 000000005F70: 7E4AB529
	v_permlane32_swap_b32_e32 v38, v42                         // 000000005F74: 7E4CB52A
	v_permlane32_swap_b32_e32 v39, v43                         // 000000005F78: 7E4EB52B
	ds_write_b32 v34, v18                                      // 000000005F7C: D81A0000 00001222
	s_waitcnt lgkmcnt(0)                                       // 000000005F84: BF8CC07F
	s_barrier                                                  // 000000005F88: BF8A0000
	ds_read_b32 v27, v35                                       // 000000005F8C: D86C0000 1B000023
	s_waitcnt lgkmcnt(0)                                       // 000000005F94: BF8CC07F
	v_mul_f32_e32 v56, v27, v56                                // 000000005F98: 0A70711B
	v_mul_f32_e32 v57, v27, v57                                // 000000005F9C: 0A72731B
	v_mul_f32_e32 v58, v27, v58                                // 000000005FA0: 0A74751B
	v_mul_f32_e32 v59, v27, v59                                // 000000005FA4: 0A76771B
	v_mul_f32_e32 v60, v27, v60                                // 000000005FA8: 0A78791B
	v_mul_f32_e32 v61, v27, v61                                // 000000005FAC: 0A7A7B1B
	v_mul_f32_e32 v62, v27, v62                                // 000000005FB0: 0A7C7D1B
	v_mul_f32_e32 v63, v27, v63                                // 000000005FB4: 0A7E7F1B
	v_mul_f32_e32 v64, v27, v64                                // 000000005FB8: 0A80811B
	v_mul_f32_e32 v65, v27, v65                                // 000000005FBC: 0A82831B
	v_mul_f32_e32 v66, v27, v66                                // 000000005FC0: 0A84851B
	v_mul_f32_e32 v67, v27, v67                                // 000000005FC4: 0A86871B
	v_mul_f32_e32 v68, v27, v68                                // 000000005FC8: 0A88891B
	v_mul_f32_e32 v69, v27, v69                                // 000000005FCC: 0A8A8B1B
	v_mul_f32_e32 v70, v27, v70                                // 000000005FD0: 0A8C8D1B
	v_mul_f32_e32 v71, v27, v71                                // 000000005FD4: 0A8E8F1B
	v_mul_f32_e32 v72, v27, v72                                // 000000005FD8: 0A90911B
	v_mul_f32_e32 v73, v27, v73                                // 000000005FDC: 0A92931B
	v_mul_f32_e32 v74, v27, v74                                // 000000005FE0: 0A94951B
	v_mul_f32_e32 v75, v27, v75                                // 000000005FE4: 0A96971B
	v_mul_f32_e32 v76, v27, v76                                // 000000005FE8: 0A98991B
	v_mul_f32_e32 v77, v27, v77                                // 000000005FEC: 0A9A9B1B
	v_mul_f32_e32 v78, v27, v78                                // 000000005FF0: 0A9C9D1B
	v_mul_f32_e32 v79, v27, v79                                // 000000005FF4: 0A9E9F1B
	v_mul_f32_e32 v80, v27, v80                                // 000000005FF8: 0AA0A11B
	v_mul_f32_e32 v81, v27, v81                                // 000000005FFC: 0AA2A31B
	v_mul_f32_e32 v82, v27, v82                                // 000000006000: 0AA4A51B
	v_mul_f32_e32 v83, v27, v83                                // 000000006004: 0AA6A71B
	v_mul_f32_e32 v84, v27, v84                                // 000000006008: 0AA8A91B
	v_mul_f32_e32 v85, v27, v85                                // 00000000600C: 0AAAAB1B
	v_mul_f32_e32 v86, v27, v86                                // 000000006010: 0AACAD1B
	v_mul_f32_e32 v87, v27, v87                                // 000000006014: 0AAEAF1B
	v_mul_f32_e32 v88, v27, v88                                // 000000006018: 0AB0B11B
	v_mul_f32_e32 v89, v27, v89                                // 00000000601C: 0AB2B31B
	v_mul_f32_e32 v90, v27, v90                                // 000000006020: 0AB4B51B
	v_mul_f32_e32 v91, v27, v91                                // 000000006024: 0AB6B71B
	v_mul_f32_e32 v92, v27, v92                                // 000000006028: 0AB8B91B
	v_mul_f32_e32 v93, v27, v93                                // 00000000602C: 0ABABB1B
	v_mul_f32_e32 v94, v27, v94                                // 000000006030: 0ABCBD1B
	v_mul_f32_e32 v95, v27, v95                                // 000000006034: 0ABEBF1B
	v_mul_f32_e32 v96, v27, v96                                // 000000006038: 0AC0C11B
	v_mul_f32_e32 v97, v27, v97                                // 00000000603C: 0AC2C31B
	v_mul_f32_e32 v98, v27, v98                                // 000000006040: 0AC4C51B
	v_mul_f32_e32 v99, v27, v99                                // 000000006044: 0AC6C71B
	v_mul_f32_e32 v100, v27, v100                              // 000000006048: 0AC8C91B
	v_mul_f32_e32 v101, v27, v101                              // 00000000604C: 0ACACB1B
	v_mul_f32_e32 v102, v27, v102                              // 000000006050: 0ACCCD1B
	v_mul_f32_e32 v103, v27, v103                              // 000000006054: 0ACECF1B
	v_mul_f32_e32 v104, v27, v104                              // 000000006058: 0AD0D11B
	v_mul_f32_e32 v105, v27, v105                              // 00000000605C: 0AD2D31B
	v_mul_f32_e32 v106, v27, v106                              // 000000006060: 0AD4D51B
	v_mul_f32_e32 v107, v27, v107                              // 000000006064: 0AD6D71B
	v_mul_f32_e32 v108, v27, v108                              // 000000006068: 0AD8D91B
	v_mul_f32_e32 v109, v27, v109                              // 00000000606C: 0ADADB1B
	v_mul_f32_e32 v110, v27, v110                              // 000000006070: 0ADCDD1B
	v_mul_f32_e32 v111, v27, v111                              // 000000006074: 0ADEDF1B
	v_mul_f32_e32 v112, v27, v112                              // 000000006078: 0AE0E11B
	v_mul_f32_e32 v113, v27, v113                              // 00000000607C: 0AE2E31B
	v_mul_f32_e32 v114, v27, v114                              // 000000006080: 0AE4E51B
	v_mul_f32_e32 v115, v27, v115                              // 000000006084: 0AE6E71B
	v_mul_f32_e32 v116, v27, v116                              // 000000006088: 0AE8E91B
	v_mul_f32_e32 v117, v27, v117                              // 00000000608C: 0AEAEB1B
	v_mul_f32_e32 v118, v27, v118                              // 000000006090: 0AECED1B
	v_mul_f32_e32 v119, v27, v119                              // 000000006094: 0AEEEF1B
	v_mul_f32_e32 v120, v27, v120                              // 000000006098: 0AF0F11B
	v_mul_f32_e32 v121, v27, v121                              // 00000000609C: 0AF2F31B
	v_mul_f32_e32 v122, v27, v122                              // 0000000060A0: 0AF4F51B
	v_mul_f32_e32 v123, v27, v123                              // 0000000060A4: 0AF6F71B
	v_mul_f32_e32 v124, v27, v124                              // 0000000060A8: 0AF8F91B
	v_mul_f32_e32 v125, v27, v125                              // 0000000060AC: 0AFAFB1B
	v_mul_f32_e32 v126, v27, v126                              // 0000000060B0: 0AFCFD1B
	v_mul_f32_e32 v127, v27, v127                              // 0000000060B4: 0AFEFF1B
	v_mul_f32_e32 v128, v27, v128                              // 0000000060B8: 0B01011B
	v_mul_f32_e32 v129, v27, v129                              // 0000000060BC: 0B03031B
	v_mul_f32_e32 v130, v27, v130                              // 0000000060C0: 0B05051B
	v_mul_f32_e32 v131, v27, v131                              // 0000000060C4: 0B07071B
	v_mul_f32_e32 v132, v27, v132                              // 0000000060C8: 0B09091B
	v_mul_f32_e32 v133, v27, v133                              // 0000000060CC: 0B0B0B1B
	v_mul_f32_e32 v134, v27, v134                              // 0000000060D0: 0B0D0D1B
	v_mul_f32_e32 v135, v27, v135                              // 0000000060D4: 0B0F0F1B
	v_mul_f32_e32 v136, v27, v136                              // 0000000060D8: 0B11111B
	v_mul_f32_e32 v137, v27, v137                              // 0000000060DC: 0B13131B
	v_mul_f32_e32 v138, v27, v138                              // 0000000060E0: 0B15151B
	v_mul_f32_e32 v139, v27, v139                              // 0000000060E4: 0B17171B
	v_mul_f32_e32 v140, v27, v140                              // 0000000060E8: 0B19191B
	v_mul_f32_e32 v141, v27, v141                              // 0000000060EC: 0B1B1B1B
	v_mul_f32_e32 v142, v27, v142                              // 0000000060F0: 0B1D1D1B
	v_mul_f32_e32 v143, v27, v143                              // 0000000060F4: 0B1F1F1B
	v_mul_f32_e32 v144, v27, v144                              // 0000000060F8: 0B21211B
	v_mul_f32_e32 v145, v27, v145                              // 0000000060FC: 0B23231B
	v_mul_f32_e32 v146, v27, v146                              // 000000006100: 0B25251B
	v_mul_f32_e32 v147, v27, v147                              // 000000006104: 0B27271B
	v_mul_f32_e32 v148, v27, v148                              // 000000006108: 0B29291B
	v_mul_f32_e32 v149, v27, v149                              // 00000000610C: 0B2B2B1B
	v_mul_f32_e32 v150, v27, v150                              // 000000006110: 0B2D2D1B
	v_mul_f32_e32 v151, v27, v151                              // 000000006114: 0B2F2F1B
	v_mul_f32_e32 v152, v27, v152                              // 000000006118: 0B31311B
	v_mul_f32_e32 v153, v27, v153                              // 00000000611C: 0B33331B
	v_mul_f32_e32 v154, v27, v154                              // 000000006120: 0B35351B
	v_mul_f32_e32 v155, v27, v155                              // 000000006124: 0B37371B
	v_mul_f32_e32 v156, v27, v156                              // 000000006128: 0B39391B
	v_mul_f32_e32 v157, v27, v157                              // 00000000612C: 0B3B3B1B
	v_mul_f32_e32 v158, v27, v158                              // 000000006130: 0B3D3D1B
	v_mul_f32_e32 v159, v27, v159                              // 000000006134: 0B3F3F1B
	v_mul_f32_e32 v160, v27, v160                              // 000000006138: 0B41411B
	v_mul_f32_e32 v161, v27, v161                              // 00000000613C: 0B43431B
	v_mul_f32_e32 v162, v27, v162                              // 000000006140: 0B45451B
	v_mul_f32_e32 v163, v27, v163                              // 000000006144: 0B47471B
	v_mul_f32_e32 v164, v27, v164                              // 000000006148: 0B49491B
	v_mul_f32_e32 v165, v27, v165                              // 00000000614C: 0B4B4B1B
	v_mul_f32_e32 v166, v27, v166                              // 000000006150: 0B4D4D1B
	v_mul_f32_e32 v167, v27, v167                              // 000000006154: 0B4F4F1B
	v_mul_f32_e32 v168, v27, v168                              // 000000006158: 0B51511B
	v_mul_f32_e32 v169, v27, v169                              // 00000000615C: 0B53531B
	v_mul_f32_e32 v170, v27, v170                              // 000000006160: 0B55551B
	v_mul_f32_e32 v171, v27, v171                              // 000000006164: 0B57571B
	v_mul_f32_e32 v172, v27, v172                              // 000000006168: 0B59591B
	v_mul_f32_e32 v173, v27, v173                              // 00000000616C: 0B5B5B1B
	v_mul_f32_e32 v174, v27, v174                              // 000000006170: 0B5D5D1B
	v_mul_f32_e32 v175, v27, v175                              // 000000006174: 0B5F5F1B
	v_mul_f32_e32 v176, v27, v176                              // 000000006178: 0B61611B
	v_mul_f32_e32 v177, v27, v177                              // 00000000617C: 0B63631B
	v_mul_f32_e32 v178, v27, v178                              // 000000006180: 0B65651B
	v_mul_f32_e32 v179, v27, v179                              // 000000006184: 0B67671B
	v_mul_f32_e32 v180, v27, v180                              // 000000006188: 0B69691B
	v_mul_f32_e32 v181, v27, v181                              // 00000000618C: 0B6B6B1B
	v_mul_f32_e32 v182, v27, v182                              // 000000006190: 0B6D6D1B
	v_mul_f32_e32 v183, v27, v183                              // 000000006194: 0B6F6F1B
	s_waitcnt lgkmcnt(0)                                       // 000000006198: BF8CC07F
	v_mfma_f32_32x32x64_f8f6f4 v[56:71], a[120:127], v[36:43], v[56:71]// 00000000619C: D3AE0038 0CE24978
	v_mfma_f32_32x32x64_f8f6f4 v[72:87], a[128:135], v[36:43], v[72:87]// 0000000061A4: D3AE0048 0D224980
	v_mfma_f32_32x32x64_f8f6f4 v[88:103], a[136:143], v[36:43], v[88:103]// 0000000061AC: D3AE0058 0D624988
	v_mfma_f32_32x32x64_f8f6f4 v[104:119], a[144:151], v[36:43], v[104:119]// 0000000061B4: D3AE0068 0DA24990
	v_mfma_f32_32x32x64_f8f6f4 v[120:135], a[152:159], v[36:43], v[120:135]// 0000000061BC: D3AE0078 0DE24998
	v_mfma_f32_32x32x64_f8f6f4 v[136:151], a[160:167], v[36:43], v[136:151]// 0000000061C4: D3AE0088 0E2249A0
	v_mfma_f32_32x32x64_f8f6f4 v[152:167], a[168:175], v[36:43], v[152:167]// 0000000061CC: D3AE0098 0E6249A8
	v_mfma_f32_32x32x64_f8f6f4 v[168:183], a[176:183], v[36:43], v[168:183]// 0000000061D4: D3AE00A8 0EA249B0
	s_waitcnt lgkmcnt(0)                                       // 0000000061DC: BF8CC07F
	s_waitcnt vmcnt(10)                                        // 0000000061E0: BF8C0F7A
	s_barrier                                                  // 0000000061E4: BF8A0000
	ds_read_b128 a[40:43], v20                                 // 0000000061E8: DBFE0000 28000014
	ds_read_b128 a[44:47], v20 offset:1024                     // 0000000061F0: DBFE0400 2C000014
	ds_read_b128 a[48:51], v20 offset:2048                     // 0000000061F8: DBFE0800 30000014
	ds_read_b128 a[52:55], v20 offset:3072                     // 000000006200: DBFE0C00 34000014
	ds_read_b128 a[56:59], v20 offset:4096                     // 000000006208: DBFE1000 38000014
	ds_read_b128 a[60:63], v20 offset:5120                     // 000000006210: DBFE1400 3C000014
	ds_read_b128 a[64:67], v20 offset:6144                     // 000000006218: DBFE1800 40000014
	ds_read_b128 a[68:71], v20 offset:7168                     // 000000006220: DBFE1C00 44000014
	ds_read_b128 a[72:75], v20 offset:8192                     // 000000006228: DBFE2000 48000014
	ds_read_b128 a[80:83], v20 offset:9216                     // 000000006230: DBFE2400 50000014
	ds_read_b128 a[84:87], v20 offset:10240                    // 000000006238: DBFE2800 54000014
	ds_read_b128 a[88:91], v20 offset:11264                    // 000000006240: DBFE2C00 58000014
	ds_read_b128 a[92:95], v20 offset:12288                    // 000000006248: DBFE3000 5C000014
	ds_read_b128 a[96:99], v20 offset:13312                    // 000000006250: DBFE3400 60000014
	ds_read_b128 a[100:103], v20 offset:14336                  // 000000006258: DBFE3800 64000014
	ds_read_b128 a[104:107], v20 offset:15360                  // 000000006260: DBFE3C00 68000014
	ds_read_b128 a[108:111], v20 offset:16384                  // 000000006268: DBFE4000 6C000014
	ds_read_b128 a[112:115], v20 offset:17408                  // 000000006270: DBFE4400 70000014
	s_addk_i32 s70, 0x1                                        // 000000006278: B7460001
	s_cmp_lt_i32 s70, s71                                      // 00000000627C: BF044746
	s_cbranch_scc0 label_2A68                                  // 000000006280: BF84FAF9
	s_waitcnt lgkmcnt(4)                                       // 000000006284: BF8CC47F
	v_mfma_f32_16x16x128_f8f6f4 v[36:39], a[40:47], a[0:7], 0  // 000000006288: D3AD0024 1A020128
	v_mul_u32_u24_e64 v30, v24, s68                            // 000000006290: D108001E 00008918
	v_add_u32_e32 v30, v30, v1                                 // 000000006298: 683C031E
	buffer_load_dword v23, v26, s[24:27], 0 offen              // 00000000629C: E0501000 8006171A
	ds_read_b128 a[40:43], v20 offset:18432                    // 0000000062A4: DBFE4800 28000014
	v_mfma_f32_16x16x128_f8f6f4 v[36:39], a[48:55], a[8:15], v[36:39]// 0000000062AC: D3AD0024 1C921130
	s_mov_b32 s56, 0x1d000                                     // 0000000062B4: BEB800FF 0001D000
	s_mul_i32 s57, s7, 0x2400                                  // 0000000062BC: 9239FF07 00002400
	s_add_u32 m0, s56, s57                                     // 0000000062C4: 807C3938
	buffer_load_dwordx4 v30, s[20:23], 0 offen lds             // 0000000062C8: E05D1000 8005001E
	s_add_i32 m0, m0, 0x3c0                                    // 0000000062D0: 817CFF7C 000003C0
	v_mfma_f32_16x16x128_f8f6f4 v[36:39], a[56:63], a[16:23], v[36:39]// 0000000062D8: D3AD0024 1C922138
	ds_read_b128 a[44:47], v20 offset:19456                    // 0000000062E0: DBFE4C00 2C000014
	v_mfma_f32_16x16x128_f8f6f4 v[36:39], a[64:71], a[24:31], v[36:39]// 0000000062E8: D3AD0024 1C923140
	buffer_load_dwordx4 v30, s[20:23], 0 offen offset:64 lds   // 0000000062F0: E05D1040 8005001E
	s_add_i32 m0, m0, 0x3c0                                    // 0000000062F8: 817CFF7C 000003C0
	v_mfma_f32_16x16x128_f8f6f4 v[36:39], a[72:79], a[32:39], v[36:39]// 000000006300: D3AD0024 1C924148
	ds_read_b128 a[48:51], v20 offset:20480                    // 000000006308: DBFE5000 30000014
	v_mfma_f32_16x16x128_f8f6f4 v[40:43], a[80:87], a[0:7], 0  // 000000006310: D3AD0028 1A020150
	buffer_load_dwordx4 v30, s[20:23], 0 offen offset:128 lds  // 000000006318: E05D1080 8005001E
	s_add_i32 m0, m0, 0x3c0                                    // 000000006320: 817CFF7C 000003C0
	v_mfma_f32_16x16x128_f8f6f4 v[40:43], a[88:95], a[8:15], v[40:43]// 000000006328: D3AD0028 1CA21158
	ds_read_b128 a[52:55], v20 offset:21504                    // 000000006330: DBFE5400 34000014
	v_mfma_f32_16x16x128_f8f6f4 v[40:43], a[96:103], a[16:23], v[40:43]// 000000006338: D3AD0028 1CA22160
	buffer_load_dwordx4 v30, s[20:23], 0 offen offset:192 lds  // 000000006340: E05D10C0 8005001E
	s_add_i32 m0, m0, 0x3c0                                    // 000000006348: 817CFF7C 000003C0
	v_mfma_f32_16x16x128_f8f6f4 v[40:43], a[104:111], a[24:31], v[40:43]// 000000006350: D3AD0028 1CA23168
	ds_read_b128 a[56:59], v20 offset:22528                    // 000000006358: DBFE5800 38000014
	v_mfma_f32_16x16x128_f8f6f4 v[40:43], a[112:119], a[32:39], v[40:43]// 000000006360: D3AD0028 1CA24170
	buffer_load_dwordx4 v30, s[20:23], 0 offen offset:256 lds  // 000000006368: E05D1100 8005001E
	s_add_i32 m0, m0, 0x3c0                                    // 000000006370: 817CFF7C 000003C0
	buffer_load_dwordx4 v30, s[20:23], 0 offen offset:320 lds  // 000000006378: E05D1140 8005001E
	s_add_i32 m0, m0, 0x3c0                                    // 000000006380: 817CFF7C 000003C0
	buffer_load_dwordx4 v30, s[20:23], 0 offen offset:384 lds  // 000000006388: E05D1180 8005001E
	s_add_i32 m0, m0, 0x3c0                                    // 000000006390: 817CFF7C 000003C0
	buffer_load_dwordx4 v30, s[20:23], 0 offen offset:448 lds  // 000000006398: E05D11C0 8005001E
	s_add_i32 m0, m0, 0x3c0                                    // 0000000063A0: 817CFF7C 000003C0
	buffer_load_dwordx4 v30, s[20:23], 0 offen offset:512 lds  // 0000000063A8: E05D1200 8005001E
	s_add_i32 m0, m0, 0x3c0                                    // 0000000063B0: 817CFF7C 000003C0
	ds_read_b128 a[60:63], v20 offset:23552                    // 0000000063B8: DBFE5C00 3C000014
	ds_read_b128 a[64:67], v20 offset:24576                    // 0000000063C0: DBFE6000 40000014
	ds_read_b128 a[68:71], v20 offset:25600                    // 0000000063C8: DBFE6400 44000014
	ds_read_b128 a[72:75], v20 offset:26624                    // 0000000063D0: DBFE6800 48000014
	ds_read_b128 a[80:83], v20 offset:27648                    // 0000000063D8: DBFE6C00 50000014
	ds_read_b128 a[84:87], v20 offset:28672                    // 0000000063E0: DBFE7000 54000014
	ds_read_b128 a[88:91], v20 offset:29696                    // 0000000063E8: DBFE7400 58000014
	ds_read_b128 a[92:95], v20 offset:30720                    // 0000000063F0: DBFE7800 5C000014
	ds_read_b128 a[96:99], v20 offset:31744                    // 0000000063F8: DBFE7C00 60000014
	ds_read_b128 a[100:103], v20 offset:32768                  // 000000006400: DBFE8000 64000014
	ds_read_b128 a[104:107], v20 offset:33792                  // 000000006408: DBFE8400 68000014
	ds_read_b128 a[108:111], v20 offset:34816                  // 000000006410: DBFE8800 6C000014
	ds_read_b128 a[112:115], v20 offset:35840                  // 000000006418: DBFE8C00 70000014
	v_add_u32_e32 v26, s73, v26                                // 000000006420: 68343449
	s_waitcnt lgkmcnt(4)                                       // 000000006424: BF8CC47F
	v_mfma_f32_16x16x128_f8f6f4 v[44:47], a[40:47], a[0:7], 0  // 000000006428: D3AD002C 1A020128
	ds_read_b64_tr_b8 a[120:121], v6                           // 000000006430: DBC40000 78000006
	ds_read_b64_tr_b8 a[122:123], v7                           // 000000006438: DBC40000 7A000007
	ds_read_b64_tr_b8 a[124:125], v6 offset:18432              // 000000006440: DBC44800 7C000006
	ds_read_b64_tr_b8 a[126:127], v7 offset:18432              // 000000006448: DBC44800 7E000007
	v_mfma_f32_16x16x128_f8f6f4 v[44:47], a[48:55], a[8:15], v[44:47]// 000000006450: D3AD002C 1CB21130
	v_mfma_f32_16x16x128_f8f6f4 v[44:47], a[56:63], a[16:23], v[44:47]// 000000006458: D3AD002C 1CB22138
	ds_read_b64_tr_b8 a[128:129], v8                           // 000000006460: DBC40000 80000008
	ds_read_b64_tr_b8 a[130:131], v9                           // 000000006468: DBC40000 82000009
	ds_read_b64_tr_b8 a[132:133], v8 offset:18432              // 000000006470: DBC44800 84000008
	ds_read_b64_tr_b8 a[134:135], v9 offset:18432              // 000000006478: DBC44800 86000009
	v_mfma_f32_16x16x128_f8f6f4 v[44:47], a[64:71], a[24:31], v[44:47]// 000000006480: D3AD002C 1CB23140
	v_mfma_f32_16x16x128_f8f6f4 v[44:47], a[72:79], a[32:39], v[44:47]// 000000006488: D3AD002C 1CB24148
	ds_read_b64_tr_b8 a[136:137], v6 offset:1024               // 000000006490: DBC40400 88000006
	ds_read_b64_tr_b8 a[138:139], v7 offset:1024               // 000000006498: DBC40400 8A000007
	ds_read_b64_tr_b8 a[140:141], v6 offset:19456              // 0000000064A0: DBC44C00 8C000006
	ds_read_b64_tr_b8 a[142:143], v7 offset:19456              // 0000000064A8: DBC44C00 8E000007
	v_mfma_f32_16x16x128_f8f6f4 v[48:51], a[80:87], a[0:7], 0  // 0000000064B0: D3AD0030 1A020150
	v_mfma_f32_16x16x128_f8f6f4 v[48:51], a[88:95], a[8:15], v[48:51]// 0000000064B8: D3AD0030 1CC21158
	ds_read_b64_tr_b8 a[144:145], v8 offset:1024               // 0000000064C0: DBC40400 90000008
	ds_read_b64_tr_b8 a[146:147], v9 offset:1024               // 0000000064C8: DBC40400 92000009
	ds_read_b64_tr_b8 a[148:149], v8 offset:19456              // 0000000064D0: DBC44C00 94000008
	ds_read_b64_tr_b8 a[150:151], v9 offset:19456              // 0000000064D8: DBC44C00 96000009
	v_mfma_f32_16x16x128_f8f6f4 v[48:51], a[96:103], a[16:23], v[48:51]// 0000000064E0: D3AD0030 1CC22160
	v_mfma_f32_16x16x128_f8f6f4 v[48:51], a[104:111], a[24:31], v[48:51]// 0000000064E8: D3AD0030 1CC23168
	ds_read_b64_tr_b8 a[152:153], v6 offset:2048               // 0000000064F0: DBC40800 98000006
	ds_read_b64_tr_b8 a[154:155], v7 offset:2048               // 0000000064F8: DBC40800 9A000007
	ds_read_b64_tr_b8 a[156:157], v6 offset:20480              // 000000006500: DBC45000 9C000006
	ds_read_b64_tr_b8 a[158:159], v7 offset:20480              // 000000006508: DBC45000 9E000007
	v_mfma_f32_16x16x128_f8f6f4 v[48:51], a[112:119], a[32:39], v[48:51]// 000000006510: D3AD0030 1CC24170
	ds_read_b64_tr_b8 a[160:161], v8 offset:2048               // 000000006518: DBC40800 A0000008
	ds_read_b64_tr_b8 a[162:163], v9 offset:2048               // 000000006520: DBC40800 A2000009
	ds_read_b64_tr_b8 a[164:165], v8 offset:20480              // 000000006528: DBC45000 A4000008
	ds_read_b64_tr_b8 a[166:167], v9 offset:20480              // 000000006530: DBC45000 A6000009
	ds_read_b64_tr_b8 a[168:169], v6 offset:3072               // 000000006538: DBC40C00 A8000006
	ds_read_b64_tr_b8 a[170:171], v7 offset:3072               // 000000006540: DBC40C00 AA000007
	ds_read_b64_tr_b8 a[172:173], v6 offset:21504              // 000000006548: DBC45400 AC000006
	ds_read_b64_tr_b8 a[174:175], v7 offset:21504              // 000000006550: DBC45400 AE000007
	ds_read_b64_tr_b8 a[176:177], v8 offset:3072               // 000000006558: DBC40C00 B0000008
	ds_read_b64_tr_b8 a[178:179], v9 offset:3072               // 000000006560: DBC40C00 B2000009
	ds_read_b64_tr_b8 a[180:181], v8 offset:21504              // 000000006568: DBC45400 B4000008
	ds_read_b64_tr_b8 a[182:183], v9 offset:21504              // 000000006570: DBC45400 B6000009
	s_cmp_le_i32 s83, s82                                      // 000000006578: BF055253
	s_cbranch_scc1 label_4330                                  // 00000000657C: BF85006C
	v_mov_b32_e32 v27, s82                                     // 000000006580: 7E360252
	v_add_i32 v27, s7, v27                                     // 000000006584: D29C001B 00023607
	s_sub_u32 s56, s83, 63                                     // 00000000658C: 80B8BF53
	v_lshrrev_b32_e32 v187, 4, v0                              // 000000006590: 21760084
	v_mul_i32_i24_e32 v187, 4, v187                            // 000000006594: 0D777684
	v_add_u32_e32 v187, s56, v187                              // 000000006598: 69777638
	v_add_u32_e32 v188, 1, v187                                // 00000000659C: 69797681
	v_add_u32_e32 v189, 2, v187                                // 0000000065A0: 697B7682
	v_add_u32_e32 v190, 3, v187                                // 0000000065A4: 697D7683
	v_mov_b32_e32 v28, 0xff800000                              // 0000000065A8: 7E3802FF FF800000
	v_cmp_le_i32_e64 s[36:37], v187, v27                       // 0000000065B0: D0C30024 000237BB
	v_add_u32_e32 v187, 16, v187                               // 0000000065B8: 69777690
	s_nop 0                                                    // 0000000065BC: BF800000
	v_cndmask_b32_e64 v36, v28, v36, s[36:37]                  // 0000000065C0: D1000024 0092491C
	v_cmp_le_i32_e64 s[36:37], v188, v27                       // 0000000065C8: D0C30024 000237BC
	v_add_u32_e32 v188, 16, v188                               // 0000000065D0: 69797890
	s_nop 0                                                    // 0000000065D4: BF800000
	v_cndmask_b32_e64 v37, v28, v37, s[36:37]                  // 0000000065D8: D1000025 00924B1C
	v_cmp_le_i32_e64 s[36:37], v189, v27                       // 0000000065E0: D0C30024 000237BD
	v_add_u32_e32 v189, 16, v189                               // 0000000065E8: 697B7A90
	s_nop 0                                                    // 0000000065EC: BF800000
	v_cndmask_b32_e64 v38, v28, v38, s[36:37]                  // 0000000065F0: D1000026 00924D1C
	v_cmp_le_i32_e64 s[36:37], v190, v27                       // 0000000065F8: D0C30024 000237BE
	v_add_u32_e32 v190, 16, v190                               // 000000006600: 697D7C90
	s_nop 0                                                    // 000000006604: BF800000
	v_cndmask_b32_e64 v39, v28, v39, s[36:37]                  // 000000006608: D1000027 00924F1C
	v_cmp_le_i32_e64 s[36:37], v187, v27                       // 000000006610: D0C30024 000237BB
	v_add_u32_e32 v187, 16, v187                               // 000000006618: 69777690
	s_nop 0                                                    // 00000000661C: BF800000
	v_cndmask_b32_e64 v40, v28, v40, s[36:37]                  // 000000006620: D1000028 0092511C
	v_cmp_le_i32_e64 s[36:37], v188, v27                       // 000000006628: D0C30024 000237BC
	v_add_u32_e32 v188, 16, v188                               // 000000006630: 69797890
	s_nop 0                                                    // 000000006634: BF800000
	v_cndmask_b32_e64 v41, v28, v41, s[36:37]                  // 000000006638: D1000029 0092531C
	v_cmp_le_i32_e64 s[36:37], v189, v27                       // 000000006640: D0C30024 000237BD
	v_add_u32_e32 v189, 16, v189                               // 000000006648: 697B7A90
	s_nop 0                                                    // 00000000664C: BF800000
	v_cndmask_b32_e64 v42, v28, v42, s[36:37]                  // 000000006650: D100002A 0092551C
	v_cmp_le_i32_e64 s[36:37], v190, v27                       // 000000006658: D0C30024 000237BE
	v_add_u32_e32 v190, 16, v190                               // 000000006660: 697D7C90
	s_nop 0                                                    // 000000006664: BF800000
	v_cndmask_b32_e64 v43, v28, v43, s[36:37]                  // 000000006668: D100002B 0092571C
	v_cmp_le_i32_e64 s[36:37], v187, v27                       // 000000006670: D0C30024 000237BB
	v_add_u32_e32 v187, 16, v187                               // 000000006678: 69777690
	s_nop 0                                                    // 00000000667C: BF800000
	v_cndmask_b32_e64 v44, v28, v44, s[36:37]                  // 000000006680: D100002C 0092591C
	v_cmp_le_i32_e64 s[36:37], v188, v27                       // 000000006688: D0C30024 000237BC
	v_add_u32_e32 v188, 16, v188                               // 000000006690: 69797890
	s_nop 0                                                    // 000000006694: BF800000
	v_cndmask_b32_e64 v45, v28, v45, s[36:37]                  // 000000006698: D100002D 00925B1C
	v_cmp_le_i32_e64 s[36:37], v189, v27                       // 0000000066A0: D0C30024 000237BD
	v_add_u32_e32 v189, 16, v189                               // 0000000066A8: 697B7A90
	s_nop 0                                                    // 0000000066AC: BF800000
	v_cndmask_b32_e64 v46, v28, v46, s[36:37]                  // 0000000066B0: D100002E 00925D1C
	v_cmp_le_i32_e64 s[36:37], v190, v27                       // 0000000066B8: D0C30024 000237BE
	v_add_u32_e32 v190, 16, v190                               // 0000000066C0: 697D7C90
	s_nop 0                                                    // 0000000066C4: BF800000
	v_cndmask_b32_e64 v47, v28, v47, s[36:37]                  // 0000000066C8: D100002F 00925F1C
	v_cmp_le_i32_e64 s[36:37], v187, v27                       // 0000000066D0: D0C30024 000237BB
	v_add_u32_e32 v187, 16, v187                               // 0000000066D8: 69777690
	s_nop 0                                                    // 0000000066DC: BF800000
	v_cndmask_b32_e64 v48, v28, v48, s[36:37]                  // 0000000066E0: D1000030 0092611C
	v_cmp_le_i32_e64 s[36:37], v188, v27                       // 0000000066E8: D0C30024 000237BC
	v_add_u32_e32 v188, 16, v188                               // 0000000066F0: 69797890
	s_nop 0                                                    // 0000000066F4: BF800000
	v_cndmask_b32_e64 v49, v28, v49, s[36:37]                  // 0000000066F8: D1000031 0092631C
	v_cmp_le_i32_e64 s[36:37], v189, v27                       // 000000006700: D0C30024 000237BD
	v_add_u32_e32 v189, 16, v189                               // 000000006708: 697B7A90
	s_nop 0                                                    // 00000000670C: BF800000
	v_cndmask_b32_e64 v50, v28, v50, s[36:37]                  // 000000006710: D1000032 0092651C
	v_cmp_le_i32_e64 s[36:37], v190, v27                       // 000000006718: D0C30024 000237BE
	v_add_u32_e32 v190, 16, v190                               // 000000006720: 697D7C90
	s_nop 0                                                    // 000000006724: BF800000
	v_cndmask_b32_e64 v51, v28, v51, s[36:37]                  // 000000006728: D1000033 0092671C

0000000000006730 <label_4330>:
	s_add_u32 s83, s84, s83                                    // 000000006730: 80535354
	s_nop 2                                                    // 000000006734: BF800002
	v_mov_b32_e32 v28, v36                                     // 000000006738: 7E380324
	v_max3_f32 v28, v36, v37, v28                              // 00000000673C: D1D3001C 04724B24
	v_max3_f32 v28, v38, v39, v28                              // 000000006744: D1D3001C 04724F26
	v_max3_f32 v28, v40, v41, v28                              // 00000000674C: D1D3001C 04725328
	v_max3_f32 v28, v42, v43, v28                              // 000000006754: D1D3001C 0472572A
	v_max3_f32 v28, v44, v45, v28                              // 00000000675C: D1D3001C 04725B2C
	v_max3_f32 v28, v46, v47, v28                              // 000000006764: D1D3001C 04725F2E
	v_max3_f32 v28, v48, v49, v28                              // 00000000676C: D1D3001C 04726330
	v_max3_f32 v28, v50, v51, v28                              // 000000006774: D1D3001C 04726732
	v_mov_b32_e32 v27, v28                                     // 00000000677C: 7E36031C
	v_mov_b32_e32 v28, v28                                     // 000000006780: 7E38031C
	s_nop 1                                                    // 000000006784: BF800001
	v_permlane16_swap_b32_e32 v27, v28                         // 000000006788: 7E36B31C
	v_mov_b32_e32 v30, v27                                     // 00000000678C: 7E3C031B
	v_mov_b32_e32 v29, v28                                     // 000000006790: 7E3A031C
	s_nop 1                                                    // 000000006794: BF800001
	v_permlane32_swap_b32_e32 v27, v28                         // 000000006798: 7E36B51C
	v_permlane32_swap_b32_e32 v29, v30                         // 00000000679C: 7E3AB51E
	v_max3_f32 v28, v27, v28, v28                              // 0000000067A0: D1D3001C 0472391B
	v_max3_f32 v28, v29, v30, v28                              // 0000000067A8: D1D3001C 04723D1D
	v_mov_b32_e32 v27, 0xff800000                              // 0000000067B0: 7E3602FF FF800000
	v_cmp_eq_u32_e64 s[36:37], v27, v2                         // 0000000067B8: D0CA0024 0002051B
	v_max_f32_e32 v28, v28, v2                                 // 0000000067C0: 1638051C
	v_sub_f32_e32 v18, v2, v28                                 // 0000000067C4: 04243902
	v_cndmask_b32_e64 v18, v18, 0, s[36:37]                    // 0000000067C8: D1000012 00910112
	v_mov_b32_e32 v2, v28                                      // 0000000067D0: 7E04031C
	v_mul_f32_e32 v28, s5, v28                                 // 0000000067D4: 0A383805
	v_mul_f32_e32 v18, s5, v18                                 // 0000000067D8: 0A242405
	v_exp_f32_e32 v18, v18                                     // 0000000067DC: 7E244112
	v_fma_f32 v36, v36, s5, -v28                               // 0000000067E0: D1CB0024 84700B24
	v_fma_f32 v37, v37, s5, -v28                               // 0000000067E8: D1CB0025 84700B25
	v_fma_f32 v38, v38, s5, -v28                               // 0000000067F0: D1CB0026 84700B26
	v_fma_f32 v39, v39, s5, -v28                               // 0000000067F8: D1CB0027 84700B27
	v_fma_f32 v40, v40, s5, -v28                               // 000000006800: D1CB0028 84700B28
	v_fma_f32 v41, v41, s5, -v28                               // 000000006808: D1CB0029 84700B29
	v_fma_f32 v42, v42, s5, -v28                               // 000000006810: D1CB002A 84700B2A
	v_fma_f32 v43, v43, s5, -v28                               // 000000006818: D1CB002B 84700B2B
	v_fma_f32 v44, v44, s5, -v28                               // 000000006820: D1CB002C 84700B2C
	v_fma_f32 v45, v45, s5, -v28                               // 000000006828: D1CB002D 84700B2D
	v_fma_f32 v46, v46, s5, -v28                               // 000000006830: D1CB002E 84700B2E
	v_fma_f32 v47, v47, s5, -v28                               // 000000006838: D1CB002F 84700B2F
	v_fma_f32 v48, v48, s5, -v28                               // 000000006840: D1CB0030 84700B30
	v_fma_f32 v49, v49, s5, -v28                               // 000000006848: D1CB0031 84700B31
	v_fma_f32 v50, v50, s5, -v28                               // 000000006850: D1CB0032 84700B32
	v_fma_f32 v51, v51, s5, -v28                               // 000000006858: D1CB0033 84700B33
	v_exp_f32_e32 v36, v36                                     // 000000006860: 7E484124
	v_exp_f32_e32 v37, v37                                     // 000000006864: 7E4A4125
	v_exp_f32_e32 v38, v38                                     // 000000006868: 7E4C4126
	v_exp_f32_e32 v39, v39                                     // 00000000686C: 7E4E4127
	v_exp_f32_e32 v40, v40                                     // 000000006870: 7E504128
	v_exp_f32_e32 v41, v41                                     // 000000006874: 7E524129
	v_exp_f32_e32 v42, v42                                     // 000000006878: 7E54412A
	v_exp_f32_e32 v43, v43                                     // 00000000687C: 7E56412B
	v_exp_f32_e32 v44, v44                                     // 000000006880: 7E58412C
	v_exp_f32_e32 v45, v45                                     // 000000006884: 7E5A412D
	v_exp_f32_e32 v46, v46                                     // 000000006888: 7E5C412E
	v_exp_f32_e32 v47, v47                                     // 00000000688C: 7E5E412F
	v_exp_f32_e32 v48, v48                                     // 000000006890: 7E604130
	v_exp_f32_e32 v49, v49                                     // 000000006894: 7E624131
	v_exp_f32_e32 v50, v50                                     // 000000006898: 7E644132
	v_exp_f32_e32 v51, v51                                     // 00000000689C: 7E664133
	v_mul_f32_e32 v4, v18, v4                                  // 0000000068A0: 0A080912
	v_mov_b32_e32 v27, v36                                     // 0000000068A4: 7E360324
	v_add_f32_e32 v27, v37, v27                                // 0000000068A8: 02363725
	v_add_f32_e32 v27, v38, v27                                // 0000000068AC: 02363726
	v_add_f32_e32 v27, v39, v27                                // 0000000068B0: 02363727
	v_add_f32_e32 v27, v40, v27                                // 0000000068B4: 02363728
	v_add_f32_e32 v27, v41, v27                                // 0000000068B8: 02363729
	v_add_f32_e32 v27, v42, v27                                // 0000000068BC: 0236372A
	v_add_f32_e32 v27, v43, v27                                // 0000000068C0: 0236372B
	v_add_f32_e32 v27, v44, v27                                // 0000000068C4: 0236372C
	v_add_f32_e32 v27, v45, v27                                // 0000000068C8: 0236372D
	v_add_f32_e32 v27, v46, v27                                // 0000000068CC: 0236372E
	v_add_f32_e32 v27, v47, v27                                // 0000000068D0: 0236372F
	v_add_f32_e32 v27, v48, v27                                // 0000000068D4: 02363730
	v_add_f32_e32 v27, v49, v27                                // 0000000068D8: 02363731
	v_add_f32_e32 v27, v50, v27                                // 0000000068DC: 02363732
	v_add_f32_e32 v27, v51, v27                                // 0000000068E0: 02363733
	v_add_f32_e32 v4, v27, v4                                  // 0000000068E4: 0208091B
	v_cvt_pk_fp8_f32 v36, v36, v37                             // 0000000068E8: D2A20024 00024B24
	v_cvt_pk_fp8_f32 v36, v38, v39 op_sel:[0,0,1]              // 0000000068F0: D2A24024 00024F26
	v_cvt_pk_fp8_f32 v37, v40, v41                             // 0000000068F8: D2A20025 00025328
	v_cvt_pk_fp8_f32 v37, v42, v43 op_sel:[0,0,1]              // 000000006900: D2A24025 0002572A
	v_cvt_pk_fp8_f32 v38, v44, v45                             // 000000006908: D2A20026 00025B2C
	v_cvt_pk_fp8_f32 v38, v46, v47 op_sel:[0,0,1]              // 000000006910: D2A24026 00025F2E
	v_cvt_pk_fp8_f32 v39, v48, v49                             // 000000006918: D2A20027 00026330
	v_cvt_pk_fp8_f32 v39, v50, v51 op_sel:[0,0,1]              // 000000006920: D2A24027 00026732
	s_nop 0                                                    // 000000006928: BF800000
	v_permlane16_swap_b32_e32 v36, v37                         // 00000000692C: 7E48B325
	v_permlane16_swap_b32_e32 v38, v39                         // 000000006930: 7E4CB327
	s_nop 0                                                    // 000000006934: BF800000
	v_permlane32_swap_b32_e32 v36, v38                         // 000000006938: 7E48B526
	v_permlane32_swap_b32_e32 v37, v39                         // 00000000693C: 7E4AB527
	ds_write_b128 v32, v[36:39]                                // 000000006940: D9BE0000 00002420
	s_waitcnt lgkmcnt(0)                                       // 000000006948: BF8CC07F
	s_barrier                                                  // 00000000694C: BF8A0000
	ds_read_b128 v[36:39], v33                                 // 000000006950: D9FE0000 24000021
	ds_read_b128 v[40:43], v33 offset:1024                     // 000000006958: D9FE0400 28000021
	s_waitcnt lgkmcnt(0)                                       // 000000006960: BF8CC07F
	v_permlane16_swap_b32_e32 v36, v40                         // 000000006964: 7E48B328
	v_permlane16_swap_b32_e32 v37, v41                         // 000000006968: 7E4AB329
	v_permlane16_swap_b32_e32 v38, v42                         // 00000000696C: 7E4CB32A
	v_permlane16_swap_b32_e32 v39, v43                         // 000000006970: 7E4EB32B
	v_permlane32_swap_b32_e32 v36, v40                         // 000000006974: 7E48B528
	v_permlane32_swap_b32_e32 v37, v41                         // 000000006978: 7E4AB529
	v_permlane32_swap_b32_e32 v38, v42                         // 00000000697C: 7E4CB52A
	v_permlane32_swap_b32_e32 v39, v43                         // 000000006980: 7E4EB52B
	ds_write_b32 v34, v18                                      // 000000006984: D81A0000 00001222
	s_waitcnt lgkmcnt(0)                                       // 00000000698C: BF8CC07F
	s_barrier                                                  // 000000006990: BF8A0000
	ds_read_b32 v27, v35                                       // 000000006994: D86C0000 1B000023
	s_waitcnt lgkmcnt(0)                                       // 00000000699C: BF8CC07F
	v_mul_f32_e32 v56, v27, v56                                // 0000000069A0: 0A70711B
	v_mul_f32_e32 v57, v27, v57                                // 0000000069A4: 0A72731B
	v_mul_f32_e32 v58, v27, v58                                // 0000000069A8: 0A74751B
	v_mul_f32_e32 v59, v27, v59                                // 0000000069AC: 0A76771B
	v_mul_f32_e32 v60, v27, v60                                // 0000000069B0: 0A78791B
	v_mul_f32_e32 v61, v27, v61                                // 0000000069B4: 0A7A7B1B
	v_mul_f32_e32 v62, v27, v62                                // 0000000069B8: 0A7C7D1B
	v_mul_f32_e32 v63, v27, v63                                // 0000000069BC: 0A7E7F1B
	v_mul_f32_e32 v64, v27, v64                                // 0000000069C0: 0A80811B
	v_mul_f32_e32 v65, v27, v65                                // 0000000069C4: 0A82831B
	v_mul_f32_e32 v66, v27, v66                                // 0000000069C8: 0A84851B
	v_mul_f32_e32 v67, v27, v67                                // 0000000069CC: 0A86871B
	v_mul_f32_e32 v68, v27, v68                                // 0000000069D0: 0A88891B
	v_mul_f32_e32 v69, v27, v69                                // 0000000069D4: 0A8A8B1B
	v_mul_f32_e32 v70, v27, v70                                // 0000000069D8: 0A8C8D1B
	v_mul_f32_e32 v71, v27, v71                                // 0000000069DC: 0A8E8F1B
	v_mul_f32_e32 v72, v27, v72                                // 0000000069E0: 0A90911B
	v_mul_f32_e32 v73, v27, v73                                // 0000000069E4: 0A92931B
	v_mul_f32_e32 v74, v27, v74                                // 0000000069E8: 0A94951B
	v_mul_f32_e32 v75, v27, v75                                // 0000000069EC: 0A96971B
	v_mul_f32_e32 v76, v27, v76                                // 0000000069F0: 0A98991B
	v_mul_f32_e32 v77, v27, v77                                // 0000000069F4: 0A9A9B1B
	v_mul_f32_e32 v78, v27, v78                                // 0000000069F8: 0A9C9D1B
	v_mul_f32_e32 v79, v27, v79                                // 0000000069FC: 0A9E9F1B
	v_mul_f32_e32 v80, v27, v80                                // 000000006A00: 0AA0A11B
	v_mul_f32_e32 v81, v27, v81                                // 000000006A04: 0AA2A31B
	v_mul_f32_e32 v82, v27, v82                                // 000000006A08: 0AA4A51B
	v_mul_f32_e32 v83, v27, v83                                // 000000006A0C: 0AA6A71B
	v_mul_f32_e32 v84, v27, v84                                // 000000006A10: 0AA8A91B
	v_mul_f32_e32 v85, v27, v85                                // 000000006A14: 0AAAAB1B
	v_mul_f32_e32 v86, v27, v86                                // 000000006A18: 0AACAD1B
	v_mul_f32_e32 v87, v27, v87                                // 000000006A1C: 0AAEAF1B
	v_mul_f32_e32 v88, v27, v88                                // 000000006A20: 0AB0B11B
	v_mul_f32_e32 v89, v27, v89                                // 000000006A24: 0AB2B31B
	v_mul_f32_e32 v90, v27, v90                                // 000000006A28: 0AB4B51B
	v_mul_f32_e32 v91, v27, v91                                // 000000006A2C: 0AB6B71B
	v_mul_f32_e32 v92, v27, v92                                // 000000006A30: 0AB8B91B
	v_mul_f32_e32 v93, v27, v93                                // 000000006A34: 0ABABB1B
	v_mul_f32_e32 v94, v27, v94                                // 000000006A38: 0ABCBD1B
	v_mul_f32_e32 v95, v27, v95                                // 000000006A3C: 0ABEBF1B
	v_mul_f32_e32 v96, v27, v96                                // 000000006A40: 0AC0C11B
	v_mul_f32_e32 v97, v27, v97                                // 000000006A44: 0AC2C31B
	v_mul_f32_e32 v98, v27, v98                                // 000000006A48: 0AC4C51B
	v_mul_f32_e32 v99, v27, v99                                // 000000006A4C: 0AC6C71B
	v_mul_f32_e32 v100, v27, v100                              // 000000006A50: 0AC8C91B
	v_mul_f32_e32 v101, v27, v101                              // 000000006A54: 0ACACB1B
	v_mul_f32_e32 v102, v27, v102                              // 000000006A58: 0ACCCD1B
	v_mul_f32_e32 v103, v27, v103                              // 000000006A5C: 0ACECF1B
	v_mul_f32_e32 v104, v27, v104                              // 000000006A60: 0AD0D11B
	v_mul_f32_e32 v105, v27, v105                              // 000000006A64: 0AD2D31B
	v_mul_f32_e32 v106, v27, v106                              // 000000006A68: 0AD4D51B
	v_mul_f32_e32 v107, v27, v107                              // 000000006A6C: 0AD6D71B
	v_mul_f32_e32 v108, v27, v108                              // 000000006A70: 0AD8D91B
	v_mul_f32_e32 v109, v27, v109                              // 000000006A74: 0ADADB1B
	v_mul_f32_e32 v110, v27, v110                              // 000000006A78: 0ADCDD1B
	v_mul_f32_e32 v111, v27, v111                              // 000000006A7C: 0ADEDF1B
	v_mul_f32_e32 v112, v27, v112                              // 000000006A80: 0AE0E11B
	v_mul_f32_e32 v113, v27, v113                              // 000000006A84: 0AE2E31B
	v_mul_f32_e32 v114, v27, v114                              // 000000006A88: 0AE4E51B
	v_mul_f32_e32 v115, v27, v115                              // 000000006A8C: 0AE6E71B
	v_mul_f32_e32 v116, v27, v116                              // 000000006A90: 0AE8E91B
	v_mul_f32_e32 v117, v27, v117                              // 000000006A94: 0AEAEB1B
	v_mul_f32_e32 v118, v27, v118                              // 000000006A98: 0AECED1B
	v_mul_f32_e32 v119, v27, v119                              // 000000006A9C: 0AEEEF1B
	v_mul_f32_e32 v120, v27, v120                              // 000000006AA0: 0AF0F11B
	v_mul_f32_e32 v121, v27, v121                              // 000000006AA4: 0AF2F31B
	v_mul_f32_e32 v122, v27, v122                              // 000000006AA8: 0AF4F51B
	v_mul_f32_e32 v123, v27, v123                              // 000000006AAC: 0AF6F71B
	v_mul_f32_e32 v124, v27, v124                              // 000000006AB0: 0AF8F91B
	v_mul_f32_e32 v125, v27, v125                              // 000000006AB4: 0AFAFB1B
	v_mul_f32_e32 v126, v27, v126                              // 000000006AB8: 0AFCFD1B
	v_mul_f32_e32 v127, v27, v127                              // 000000006ABC: 0AFEFF1B
	v_mul_f32_e32 v128, v27, v128                              // 000000006AC0: 0B01011B
	v_mul_f32_e32 v129, v27, v129                              // 000000006AC4: 0B03031B
	v_mul_f32_e32 v130, v27, v130                              // 000000006AC8: 0B05051B
	v_mul_f32_e32 v131, v27, v131                              // 000000006ACC: 0B07071B
	v_mul_f32_e32 v132, v27, v132                              // 000000006AD0: 0B09091B
	v_mul_f32_e32 v133, v27, v133                              // 000000006AD4: 0B0B0B1B
	v_mul_f32_e32 v134, v27, v134                              // 000000006AD8: 0B0D0D1B
	v_mul_f32_e32 v135, v27, v135                              // 000000006ADC: 0B0F0F1B
	v_mul_f32_e32 v136, v27, v136                              // 000000006AE0: 0B11111B
	v_mul_f32_e32 v137, v27, v137                              // 000000006AE4: 0B13131B
	v_mul_f32_e32 v138, v27, v138                              // 000000006AE8: 0B15151B
	v_mul_f32_e32 v139, v27, v139                              // 000000006AEC: 0B17171B
	v_mul_f32_e32 v140, v27, v140                              // 000000006AF0: 0B19191B
	v_mul_f32_e32 v141, v27, v141                              // 000000006AF4: 0B1B1B1B
	v_mul_f32_e32 v142, v27, v142                              // 000000006AF8: 0B1D1D1B
	v_mul_f32_e32 v143, v27, v143                              // 000000006AFC: 0B1F1F1B
	v_mul_f32_e32 v144, v27, v144                              // 000000006B00: 0B21211B
	v_mul_f32_e32 v145, v27, v145                              // 000000006B04: 0B23231B
	v_mul_f32_e32 v146, v27, v146                              // 000000006B08: 0B25251B
	v_mul_f32_e32 v147, v27, v147                              // 000000006B0C: 0B27271B
	v_mul_f32_e32 v148, v27, v148                              // 000000006B10: 0B29291B
	v_mul_f32_e32 v149, v27, v149                              // 000000006B14: 0B2B2B1B
	v_mul_f32_e32 v150, v27, v150                              // 000000006B18: 0B2D2D1B
	v_mul_f32_e32 v151, v27, v151                              // 000000006B1C: 0B2F2F1B
	v_mul_f32_e32 v152, v27, v152                              // 000000006B20: 0B31311B
	v_mul_f32_e32 v153, v27, v153                              // 000000006B24: 0B33331B
	v_mul_f32_e32 v154, v27, v154                              // 000000006B28: 0B35351B
	v_mul_f32_e32 v155, v27, v155                              // 000000006B2C: 0B37371B
	v_mul_f32_e32 v156, v27, v156                              // 000000006B30: 0B39391B
	v_mul_f32_e32 v157, v27, v157                              // 000000006B34: 0B3B3B1B
	v_mul_f32_e32 v158, v27, v158                              // 000000006B38: 0B3D3D1B
	v_mul_f32_e32 v159, v27, v159                              // 000000006B3C: 0B3F3F1B
	v_mul_f32_e32 v160, v27, v160                              // 000000006B40: 0B41411B
	v_mul_f32_e32 v161, v27, v161                              // 000000006B44: 0B43431B
	v_mul_f32_e32 v162, v27, v162                              // 000000006B48: 0B45451B
	v_mul_f32_e32 v163, v27, v163                              // 000000006B4C: 0B47471B
	v_mul_f32_e32 v164, v27, v164                              // 000000006B50: 0B49491B
	v_mul_f32_e32 v165, v27, v165                              // 000000006B54: 0B4B4B1B
	v_mul_f32_e32 v166, v27, v166                              // 000000006B58: 0B4D4D1B
	v_mul_f32_e32 v167, v27, v167                              // 000000006B5C: 0B4F4F1B
	v_mul_f32_e32 v168, v27, v168                              // 000000006B60: 0B51511B
	v_mul_f32_e32 v169, v27, v169                              // 000000006B64: 0B53531B
	v_mul_f32_e32 v170, v27, v170                              // 000000006B68: 0B55551B
	v_mul_f32_e32 v171, v27, v171                              // 000000006B6C: 0B57571B
	v_mul_f32_e32 v172, v27, v172                              // 000000006B70: 0B59591B
	v_mul_f32_e32 v173, v27, v173                              // 000000006B74: 0B5B5B1B
	v_mul_f32_e32 v174, v27, v174                              // 000000006B78: 0B5D5D1B
	v_mul_f32_e32 v175, v27, v175                              // 000000006B7C: 0B5F5F1B
	v_mul_f32_e32 v176, v27, v176                              // 000000006B80: 0B61611B
	v_mul_f32_e32 v177, v27, v177                              // 000000006B84: 0B63631B
	v_mul_f32_e32 v178, v27, v178                              // 000000006B88: 0B65651B
	v_mul_f32_e32 v179, v27, v179                              // 000000006B8C: 0B67671B
	v_mul_f32_e32 v180, v27, v180                              // 000000006B90: 0B69691B
	v_mul_f32_e32 v181, v27, v181                              // 000000006B94: 0B6B6B1B
	v_mul_f32_e32 v182, v27, v182                              // 000000006B98: 0B6D6D1B
	v_mul_f32_e32 v183, v27, v183                              // 000000006B9C: 0B6F6F1B
	s_waitcnt lgkmcnt(0)                                       // 000000006BA0: BF8CC07F
	v_mfma_f32_32x32x64_f8f6f4 v[56:71], a[120:127], v[36:43], v[56:71]// 000000006BA4: D3AE0038 0CE24978
	v_mfma_f32_32x32x64_f8f6f4 v[72:87], a[128:135], v[36:43], v[72:87]// 000000006BAC: D3AE0048 0D224980
	v_mfma_f32_32x32x64_f8f6f4 v[88:103], a[136:143], v[36:43], v[88:103]// 000000006BB4: D3AE0058 0D624988
	v_mfma_f32_32x32x64_f8f6f4 v[104:119], a[144:151], v[36:43], v[104:119]// 000000006BBC: D3AE0068 0DA24990
	v_mfma_f32_32x32x64_f8f6f4 v[120:135], a[152:159], v[36:43], v[120:135]// 000000006BC4: D3AE0078 0DE24998
	v_mfma_f32_32x32x64_f8f6f4 v[136:151], a[160:167], v[36:43], v[136:151]// 000000006BCC: D3AE0088 0E2249A0
	v_mfma_f32_32x32x64_f8f6f4 v[152:167], a[168:175], v[36:43], v[152:167]// 000000006BD4: D3AE0098 0E6249A8
	v_mfma_f32_32x32x64_f8f6f4 v[168:183], a[176:183], v[36:43], v[168:183]// 000000006BDC: D3AE00A8 0EA249B0
	s_waitcnt lgkmcnt(0)                                       // 000000006BE4: BF8CC07F
	s_waitcnt vmcnt(10)                                        // 000000006BE8: BF8C0F7A
	s_barrier                                                  // 000000006BEC: BF8A0000
	ds_read_b128 a[40:43], v21                                 // 000000006BF0: DBFE0000 28000015
	ds_read_b128 a[44:47], v21 offset:1024                     // 000000006BF8: DBFE0400 2C000015
	ds_read_b128 a[48:51], v21 offset:2048                     // 000000006C00: DBFE0800 30000015
	ds_read_b128 a[52:55], v21 offset:3072                     // 000000006C08: DBFE0C00 34000015
	ds_read_b128 a[56:59], v21 offset:4096                     // 000000006C10: DBFE1000 38000015
	ds_read_b128 a[60:63], v21 offset:5120                     // 000000006C18: DBFE1400 3C000015
	ds_read_b128 a[64:67], v21 offset:6144                     // 000000006C20: DBFE1800 40000015
	ds_read_b128 a[68:71], v21 offset:7168                     // 000000006C28: DBFE1C00 44000015
	ds_read_b128 a[72:75], v21 offset:8192                     // 000000006C30: DBFE2000 48000015
	ds_read_b128 a[80:83], v21 offset:9216                     // 000000006C38: DBFE2400 50000015
	ds_read_b128 a[84:87], v21 offset:10240                    // 000000006C40: DBFE2800 54000015
	ds_read_b128 a[88:91], v21 offset:11264                    // 000000006C48: DBFE2C00 58000015
	ds_read_b128 a[92:95], v21 offset:12288                    // 000000006C50: DBFE3000 5C000015
	ds_read_b128 a[96:99], v21 offset:13312                    // 000000006C58: DBFE3400 60000015
	ds_read_b128 a[100:103], v21 offset:14336                  // 000000006C60: DBFE3800 64000015
	ds_read_b128 a[104:107], v21 offset:15360                  // 000000006C68: DBFE3C00 68000015
	ds_read_b128 a[108:111], v21 offset:16384                  // 000000006C70: DBFE4000 6C000015
	ds_read_b128 a[112:115], v21 offset:17408                  // 000000006C78: DBFE4400 70000015
	s_addk_i32 s70, 0x1                                        // 000000006C80: B7460001
	s_cmp_lt_i32 s70, s71                                      // 000000006C84: BF044746
	s_cbranch_scc0 label_2A68                                  // 000000006C88: BF84F877
	s_branch label_2A74                                        // 000000006C8C: BF82F879

0000000000006c90 <label_4890>:
	s_cmp_eq_i32 s48, 0                                        // 000000006C90: BF008030
	s_cbranch_scc1 label_6A40                                  // 000000006C94: BF8507E8

0000000000006c98 <label_4898>:
	s_mov_b32 s37, 3                                           // 000000006C98: BEA50083
	s_mov_b32 s36, s71                                         // 000000006C9C: BEA40047
	v_cvt_f32_u32_e32 v27, s37                                 // 000000006CA0: 7E360C25
	s_sub_i32 s56, 0, s37                                      // 000000006CA4: 81B82580
	v_rcp_iflag_f32_e32 v27, v27                               // 000000006CA8: 7E36471B
	s_nop 0                                                    // 000000006CAC: BF800000
	v_mul_f32_e32 v27, 0x4f7ffffe, v27                         // 000000006CB0: 0A3636FF 4F7FFFFE
	v_cvt_u32_f32_e32 v27, v27                                 // 000000006CB8: 7E360F1B
	v_mul_lo_u32 v28, s56, v27                                 // 000000006CBC: D285001C 00023638
	v_mul_hi_u32 v28, v27, v28                                 // 000000006CC4: D286001C 0002391B
	v_add_u32_e32 v27, v27, v28                                // 000000006CCC: 6836391B
	v_mul_hi_u32 v27, s36, v27                                 // 000000006CD0: D286001B 00023624
	v_mul_lo_u32 v28, v27, s37                                 // 000000006CD8: D285001C 00004B1B
	v_sub_u32_e32 v30, s36, v28                                // 000000006CE0: 6A3C3824
	v_add_u32_e32 v29, 1, v27                                  // 000000006CE4: 683A3681
	v_cmp_le_u32_e32 vcc, s37, v30                             // 000000006CE8: 7D963C25
	v_subrev_u32_e32 v28, s37, v30                             // 000000006CEC: 6C383C25
	s_nop 0                                                    // 000000006CF0: BF800000
	v_cndmask_b32_e32 v27, v27, v29, vcc                       // 000000006CF4: 00363B1B
	v_cndmask_b32_e32 v30, v30, v28, vcc                       // 000000006CF8: 003C391E
	v_add_u32_e32 v28, 1, v27                                  // 000000006CFC: 68383681
	v_cmp_le_u32_e32 vcc, s37, v30                             // 000000006D00: 7D963C25
	s_nop 1                                                    // 000000006D04: BF800001
	v_cndmask_b32_e32 v30, v27, v28, vcc                       // 000000006D08: 003C391B
	s_nop 3                                                    // 000000006D0C: BF800003
	v_readfirstlane_b32 s38, v30                               // 000000006D10: 7E4C051E
	s_nop 3                                                    // 000000006D14: BF800003
	s_mul_i32 s56, s38, 3                                      // 000000006D18: 92388326
	s_sub_u32 s56, s71, s56                                    // 000000006D1C: 80B83847
	s_cmp_eq_i32 s56, 1                                        // 000000006D20: BF008138
	s_cbranch_scc1 label_5DE0                                  // 000000006D24: BF85052E
	s_cmp_eq_i32 s56, 0                                        // 000000006D28: BF008038
	s_cbranch_scc1 label_5388                                  // 000000006D2C: BF850296
	s_waitcnt lgkmcnt(4)                                       // 000000006D30: BF8CC47F
	v_mfma_f32_16x16x128_f8f6f4 v[36:39], a[40:47], a[0:7], 0  // 000000006D34: D3AD0024 1A020128
	ds_read_b128 a[40:43], v20 offset:18432                    // 000000006D3C: DBFE4800 28000014
	v_mfma_f32_16x16x128_f8f6f4 v[36:39], a[48:55], a[8:15], v[36:39]// 000000006D44: D3AD0024 1C921130
	ds_read_b128 a[44:47], v20 offset:19456                    // 000000006D4C: DBFE4C00 2C000014
	v_mfma_f32_16x16x128_f8f6f4 v[36:39], a[56:63], a[16:23], v[36:39]// 000000006D54: D3AD0024 1C922138
	ds_read_b128 a[48:51], v20 offset:20480                    // 000000006D5C: DBFE5000 30000014
	v_mfma_f32_16x16x128_f8f6f4 v[36:39], a[64:71], a[24:31], v[36:39]// 000000006D64: D3AD0024 1C923140
	ds_read_b128 a[52:55], v20 offset:21504                    // 000000006D6C: DBFE5400 34000014
	v_mfma_f32_16x16x128_f8f6f4 v[36:39], a[72:79], a[32:39], v[36:39]// 000000006D74: D3AD0024 1C924148
	ds_read_b128 a[56:59], v20 offset:22528                    // 000000006D7C: DBFE5800 38000014
	v_mfma_f32_16x16x128_f8f6f4 v[40:43], a[80:87], a[0:7], 0  // 000000006D84: D3AD0028 1A020150
	ds_read_b128 a[60:63], v20 offset:23552                    // 000000006D8C: DBFE5C00 3C000014
	v_mfma_f32_16x16x128_f8f6f4 v[40:43], a[88:95], a[8:15], v[40:43]// 000000006D94: D3AD0028 1CA21158
	ds_read_b128 a[64:67], v20 offset:24576                    // 000000006D9C: DBFE6000 40000014
	v_mfma_f32_16x16x128_f8f6f4 v[40:43], a[96:103], a[16:23], v[40:43]// 000000006DA4: D3AD0028 1CA22160
	ds_read_b128 a[68:71], v20 offset:25600                    // 000000006DAC: DBFE6400 44000014
	v_mfma_f32_16x16x128_f8f6f4 v[40:43], a[104:111], a[24:31], v[40:43]// 000000006DB4: D3AD0028 1CA23168
	ds_read_b128 a[72:75], v20 offset:26624                    // 000000006DBC: DBFE6800 48000014
	v_mfma_f32_16x16x128_f8f6f4 v[40:43], a[112:119], a[32:39], v[40:43]// 000000006DC4: D3AD0028 1CA24170
	ds_read_b128 a[80:83], v20 offset:27648                    // 000000006DCC: DBFE6C00 50000014
	ds_read_b128 a[84:87], v20 offset:28672                    // 000000006DD4: DBFE7000 54000014
	ds_read_b128 a[88:91], v20 offset:29696                    // 000000006DDC: DBFE7400 58000014
	ds_read_b128 a[92:95], v20 offset:30720                    // 000000006DE4: DBFE7800 5C000014
	ds_read_b128 a[96:99], v20 offset:31744                    // 000000006DEC: DBFE7C00 60000014
	ds_read_b128 a[100:103], v20 offset:32768                  // 000000006DF4: DBFE8000 64000014
	ds_read_b128 a[104:107], v20 offset:33792                  // 000000006DFC: DBFE8400 68000014
	ds_read_b128 a[108:111], v20 offset:34816                  // 000000006E04: DBFE8800 6C000014
	ds_read_b128 a[112:115], v20 offset:35840                  // 000000006E0C: DBFE8C00 70000014
	s_waitcnt lgkmcnt(0)                                       // 000000006E14: BF8CC07F
	v_mfma_f32_16x16x128_f8f6f4 v[44:47], a[40:47], a[0:7], 0  // 000000006E18: D3AD002C 1A020128
	ds_read_b64_tr_b8 a[120:121], v6                           // 000000006E20: DBC40000 78000006
	ds_read_b64_tr_b8 a[122:123], v7                           // 000000006E28: DBC40000 7A000007
	ds_read_b64_tr_b8 a[124:125], v6 offset:18432              // 000000006E30: DBC44800 7C000006
	ds_read_b64_tr_b8 a[126:127], v7 offset:18432              // 000000006E38: DBC44800 7E000007
	v_mfma_f32_16x16x128_f8f6f4 v[44:47], a[48:55], a[8:15], v[44:47]// 000000006E40: D3AD002C 1CB21130
	ds_read_b64_tr_b8 a[128:129], v8                           // 000000006E48: DBC40000 80000008
	ds_read_b64_tr_b8 a[130:131], v9                           // 000000006E50: DBC40000 82000009
	ds_read_b64_tr_b8 a[132:133], v8 offset:18432              // 000000006E58: DBC44800 84000008
	ds_read_b64_tr_b8 a[134:135], v9 offset:18432              // 000000006E60: DBC44800 86000009
	v_mfma_f32_16x16x128_f8f6f4 v[44:47], a[56:63], a[16:23], v[44:47]// 000000006E68: D3AD002C 1CB22138
	ds_read_b64_tr_b8 a[136:137], v6 offset:1024               // 000000006E70: DBC40400 88000006
	ds_read_b64_tr_b8 a[138:139], v7 offset:1024               // 000000006E78: DBC40400 8A000007
	ds_read_b64_tr_b8 a[140:141], v6 offset:19456              // 000000006E80: DBC44C00 8C000006
	ds_read_b64_tr_b8 a[142:143], v7 offset:19456              // 000000006E88: DBC44C00 8E000007
	v_mfma_f32_16x16x128_f8f6f4 v[44:47], a[64:71], a[24:31], v[44:47]// 000000006E90: D3AD002C 1CB23140
	ds_read_b64_tr_b8 a[144:145], v8 offset:1024               // 000000006E98: DBC40400 90000008
	ds_read_b64_tr_b8 a[146:147], v9 offset:1024               // 000000006EA0: DBC40400 92000009
	ds_read_b64_tr_b8 a[148:149], v8 offset:19456              // 000000006EA8: DBC44C00 94000008
	ds_read_b64_tr_b8 a[150:151], v9 offset:19456              // 000000006EB0: DBC44C00 96000009
	v_mfma_f32_16x16x128_f8f6f4 v[44:47], a[72:79], a[32:39], v[44:47]// 000000006EB8: D3AD002C 1CB24148
	ds_read_b64_tr_b8 a[152:153], v6 offset:2048               // 000000006EC0: DBC40800 98000006
	ds_read_b64_tr_b8 a[154:155], v7 offset:2048               // 000000006EC8: DBC40800 9A000007
	ds_read_b64_tr_b8 a[156:157], v6 offset:20480              // 000000006ED0: DBC45000 9C000006
	ds_read_b64_tr_b8 a[158:159], v7 offset:20480              // 000000006ED8: DBC45000 9E000007
	v_mfma_f32_16x16x128_f8f6f4 v[48:51], a[80:87], a[0:7], 0  // 000000006EE0: D3AD0030 1A020150
	ds_read_b64_tr_b8 a[160:161], v8 offset:2048               // 000000006EE8: DBC40800 A0000008
	ds_read_b64_tr_b8 a[162:163], v9 offset:2048               // 000000006EF0: DBC40800 A2000009
	ds_read_b64_tr_b8 a[164:165], v8 offset:20480              // 000000006EF8: DBC45000 A4000008
	ds_read_b64_tr_b8 a[166:167], v9 offset:20480              // 000000006F00: DBC45000 A6000009
	v_mfma_f32_16x16x128_f8f6f4 v[48:51], a[88:95], a[8:15], v[48:51]// 000000006F08: D3AD0030 1CC21158
	ds_read_b64_tr_b8 a[168:169], v6 offset:3072               // 000000006F10: DBC40C00 A8000006
	ds_read_b64_tr_b8 a[170:171], v7 offset:3072               // 000000006F18: DBC40C00 AA000007
	ds_read_b64_tr_b8 a[172:173], v6 offset:21504              // 000000006F20: DBC45400 AC000006
	ds_read_b64_tr_b8 a[174:175], v7 offset:21504              // 000000006F28: DBC45400 AE000007
	v_mfma_f32_16x16x128_f8f6f4 v[48:51], a[96:103], a[16:23], v[48:51]// 000000006F30: D3AD0030 1CC22160
	ds_read_b64_tr_b8 a[176:177], v8 offset:3072               // 000000006F38: DBC40C00 B0000008
	ds_read_b64_tr_b8 a[178:179], v9 offset:3072               // 000000006F40: DBC40C00 B2000009
	ds_read_b64_tr_b8 a[180:181], v8 offset:21504              // 000000006F48: DBC45400 B4000008
	ds_read_b64_tr_b8 a[182:183], v9 offset:21504              // 000000006F50: DBC45400 B6000009
	v_mfma_f32_16x16x128_f8f6f4 v[48:51], a[104:111], a[24:31], v[48:51]// 000000006F58: D3AD0030 1CC23168
	v_mfma_f32_16x16x128_f8f6f4 v[48:51], a[112:119], a[32:39], v[48:51]// 000000006F60: D3AD0030 1CC24170
	s_nop 8                                                    // 000000006F68: BF800008
	s_and_b32 s56, s48, 0xff                                   // 000000006F6C: 8638FF30 000000FF
	v_mov_b32_e32 v28, s56                                     // 000000006F74: 7E380238
	v_lshrrev_b32_e32 v187, 4, v0                              // 000000006F78: 21760084
	v_mul_i32_i24_e32 v187, 4, v187                            // 000000006F7C: 0D777684
	v_add_u32_e32 v188, 1, v187                                // 000000006F80: 69797681
	v_add_u32_e32 v189, 2, v187                                // 000000006F84: 697B7682
	v_add_u32_e32 v190, 3, v187                                // 000000006F88: 697D7683
	v_mov_b32_e32 v27, 0xff800000                              // 000000006F8C: 7E3602FF FF800000
	v_cmp_lt_u32_e64 s[36:37], v187, v28                       // 000000006F94: D0C90024 000239BB
	v_add_u32_e32 v187, 16, v187                               // 000000006F9C: 69777690
	s_nop 0                                                    // 000000006FA0: BF800000
	v_cndmask_b32_e64 v36, v27, v36, s[36:37]                  // 000000006FA4: D1000024 0092491B
	v_cmp_lt_u32_e64 s[36:37], v188, v28                       // 000000006FAC: D0C90024 000239BC
	v_add_u32_e32 v188, 16, v188                               // 000000006FB4: 69797890
	s_nop 0                                                    // 000000006FB8: BF800000
	v_cndmask_b32_e64 v37, v27, v37, s[36:37]                  // 000000006FBC: D1000025 00924B1B
	v_cmp_lt_u32_e64 s[36:37], v189, v28                       // 000000006FC4: D0C90024 000239BD
	v_add_u32_e32 v189, 16, v189                               // 000000006FCC: 697B7A90
	s_nop 0                                                    // 000000006FD0: BF800000
	v_cndmask_b32_e64 v38, v27, v38, s[36:37]                  // 000000006FD4: D1000026 00924D1B
	v_cmp_lt_u32_e64 s[36:37], v190, v28                       // 000000006FDC: D0C90024 000239BE
	v_add_u32_e32 v190, 16, v190                               // 000000006FE4: 697D7C90
	s_nop 0                                                    // 000000006FE8: BF800000
	v_cndmask_b32_e64 v39, v27, v39, s[36:37]                  // 000000006FEC: D1000027 00924F1B
	v_cmp_lt_u32_e64 s[36:37], v187, v28                       // 000000006FF4: D0C90024 000239BB
	v_add_u32_e32 v187, 16, v187                               // 000000006FFC: 69777690
	s_nop 0                                                    // 000000007000: BF800000
	v_cndmask_b32_e64 v40, v27, v40, s[36:37]                  // 000000007004: D1000028 0092511B
	v_cmp_lt_u32_e64 s[36:37], v188, v28                       // 00000000700C: D0C90024 000239BC
	v_add_u32_e32 v188, 16, v188                               // 000000007014: 69797890
	s_nop 0                                                    // 000000007018: BF800000
	v_cndmask_b32_e64 v41, v27, v41, s[36:37]                  // 00000000701C: D1000029 0092531B
	v_cmp_lt_u32_e64 s[36:37], v189, v28                       // 000000007024: D0C90024 000239BD
	v_add_u32_e32 v189, 16, v189                               // 00000000702C: 697B7A90
	s_nop 0                                                    // 000000007030: BF800000
	v_cndmask_b32_e64 v42, v27, v42, s[36:37]                  // 000000007034: D100002A 0092551B
	v_cmp_lt_u32_e64 s[36:37], v190, v28                       // 00000000703C: D0C90024 000239BE
	v_add_u32_e32 v190, 16, v190                               // 000000007044: 697D7C90
	s_nop 0                                                    // 000000007048: BF800000
	v_cndmask_b32_e64 v43, v27, v43, s[36:37]                  // 00000000704C: D100002B 0092571B
	v_cmp_lt_u32_e64 s[36:37], v187, v28                       // 000000007054: D0C90024 000239BB
	v_add_u32_e32 v187, 16, v187                               // 00000000705C: 69777690
	s_nop 0                                                    // 000000007060: BF800000
	v_cndmask_b32_e64 v44, v27, v44, s[36:37]                  // 000000007064: D100002C 0092591B
	v_cmp_lt_u32_e64 s[36:37], v188, v28                       // 00000000706C: D0C90024 000239BC
	v_add_u32_e32 v188, 16, v188                               // 000000007074: 69797890
	s_nop 0                                                    // 000000007078: BF800000
	v_cndmask_b32_e64 v45, v27, v45, s[36:37]                  // 00000000707C: D100002D 00925B1B
	v_cmp_lt_u32_e64 s[36:37], v189, v28                       // 000000007084: D0C90024 000239BD
	v_add_u32_e32 v189, 16, v189                               // 00000000708C: 697B7A90
	s_nop 0                                                    // 000000007090: BF800000
	v_cndmask_b32_e64 v46, v27, v46, s[36:37]                  // 000000007094: D100002E 00925D1B
	v_cmp_lt_u32_e64 s[36:37], v190, v28                       // 00000000709C: D0C90024 000239BE
	v_add_u32_e32 v190, 16, v190                               // 0000000070A4: 697D7C90
	s_nop 0                                                    // 0000000070A8: BF800000
	v_cndmask_b32_e64 v47, v27, v47, s[36:37]                  // 0000000070AC: D100002F 00925F1B
	v_cmp_lt_u32_e64 s[36:37], v187, v28                       // 0000000070B4: D0C90024 000239BB
	v_add_u32_e32 v187, 16, v187                               // 0000000070BC: 69777690
	s_nop 0                                                    // 0000000070C0: BF800000
	v_cndmask_b32_e64 v48, v27, v48, s[36:37]                  // 0000000070C4: D1000030 0092611B
	v_cmp_lt_u32_e64 s[36:37], v188, v28                       // 0000000070CC: D0C90024 000239BC
	v_add_u32_e32 v188, 16, v188                               // 0000000070D4: 69797890
	s_nop 0                                                    // 0000000070D8: BF800000
	v_cndmask_b32_e64 v49, v27, v49, s[36:37]                  // 0000000070DC: D1000031 0092631B
	v_cmp_lt_u32_e64 s[36:37], v189, v28                       // 0000000070E4: D0C90024 000239BD
	v_add_u32_e32 v189, 16, v189                               // 0000000070EC: 697B7A90
	s_nop 0                                                    // 0000000070F0: BF800000
	v_cndmask_b32_e64 v50, v27, v50, s[36:37]                  // 0000000070F4: D1000032 0092651B
	v_cmp_lt_u32_e64 s[36:37], v190, v28                       // 0000000070FC: D0C90024 000239BE
	v_add_u32_e32 v190, 16, v190                               // 000000007104: 697D7C90
	s_nop 0                                                    // 000000007108: BF800000
	v_cndmask_b32_e64 v51, v27, v51, s[36:37]                  // 00000000710C: D1000033 0092671B
	s_cmp_le_i32 s83, s82                                      // 000000007114: BF055253
	s_cbranch_scc1 label_4ECC                                  // 000000007118: BF85006C
	v_mov_b32_e32 v27, s82                                     // 00000000711C: 7E360252
	v_add_i32 v27, s7, v27                                     // 000000007120: D29C001B 00023607
	s_sub_u32 s56, s83, 63                                     // 000000007128: 80B8BF53
	v_lshrrev_b32_e32 v187, 4, v0                              // 00000000712C: 21760084
	v_mul_i32_i24_e32 v187, 4, v187                            // 000000007130: 0D777684
	v_add_u32_e32 v187, s56, v187                              // 000000007134: 69777638
	v_add_u32_e32 v188, 1, v187                                // 000000007138: 69797681
	v_add_u32_e32 v189, 2, v187                                // 00000000713C: 697B7682
	v_add_u32_e32 v190, 3, v187                                // 000000007140: 697D7683
	v_mov_b32_e32 v28, 0xff800000                              // 000000007144: 7E3802FF FF800000
	v_cmp_le_i32_e64 s[36:37], v187, v27                       // 00000000714C: D0C30024 000237BB
	v_add_u32_e32 v187, 16, v187                               // 000000007154: 69777690
	s_nop 0                                                    // 000000007158: BF800000
	v_cndmask_b32_e64 v36, v28, v36, s[36:37]                  // 00000000715C: D1000024 0092491C
	v_cmp_le_i32_e64 s[36:37], v188, v27                       // 000000007164: D0C30024 000237BC
	v_add_u32_e32 v188, 16, v188                               // 00000000716C: 69797890
	s_nop 0                                                    // 000000007170: BF800000
	v_cndmask_b32_e64 v37, v28, v37, s[36:37]                  // 000000007174: D1000025 00924B1C
	v_cmp_le_i32_e64 s[36:37], v189, v27                       // 00000000717C: D0C30024 000237BD
	v_add_u32_e32 v189, 16, v189                               // 000000007184: 697B7A90
	s_nop 0                                                    // 000000007188: BF800000
	v_cndmask_b32_e64 v38, v28, v38, s[36:37]                  // 00000000718C: D1000026 00924D1C
	v_cmp_le_i32_e64 s[36:37], v190, v27                       // 000000007194: D0C30024 000237BE
	v_add_u32_e32 v190, 16, v190                               // 00000000719C: 697D7C90
	s_nop 0                                                    // 0000000071A0: BF800000
	v_cndmask_b32_e64 v39, v28, v39, s[36:37]                  // 0000000071A4: D1000027 00924F1C
	v_cmp_le_i32_e64 s[36:37], v187, v27                       // 0000000071AC: D0C30024 000237BB
	v_add_u32_e32 v187, 16, v187                               // 0000000071B4: 69777690
	s_nop 0                                                    // 0000000071B8: BF800000
	v_cndmask_b32_e64 v40, v28, v40, s[36:37]                  // 0000000071BC: D1000028 0092511C
	v_cmp_le_i32_e64 s[36:37], v188, v27                       // 0000000071C4: D0C30024 000237BC
	v_add_u32_e32 v188, 16, v188                               // 0000000071CC: 69797890
	s_nop 0                                                    // 0000000071D0: BF800000
	v_cndmask_b32_e64 v41, v28, v41, s[36:37]                  // 0000000071D4: D1000029 0092531C
	v_cmp_le_i32_e64 s[36:37], v189, v27                       // 0000000071DC: D0C30024 000237BD
	v_add_u32_e32 v189, 16, v189                               // 0000000071E4: 697B7A90
	s_nop 0                                                    // 0000000071E8: BF800000
	v_cndmask_b32_e64 v42, v28, v42, s[36:37]                  // 0000000071EC: D100002A 0092551C
	v_cmp_le_i32_e64 s[36:37], v190, v27                       // 0000000071F4: D0C30024 000237BE
	v_add_u32_e32 v190, 16, v190                               // 0000000071FC: 697D7C90
	s_nop 0                                                    // 000000007200: BF800000
	v_cndmask_b32_e64 v43, v28, v43, s[36:37]                  // 000000007204: D100002B 0092571C
	v_cmp_le_i32_e64 s[36:37], v187, v27                       // 00000000720C: D0C30024 000237BB
	v_add_u32_e32 v187, 16, v187                               // 000000007214: 69777690
	s_nop 0                                                    // 000000007218: BF800000
	v_cndmask_b32_e64 v44, v28, v44, s[36:37]                  // 00000000721C: D100002C 0092591C
	v_cmp_le_i32_e64 s[36:37], v188, v27                       // 000000007224: D0C30024 000237BC
	v_add_u32_e32 v188, 16, v188                               // 00000000722C: 69797890
	s_nop 0                                                    // 000000007230: BF800000
	v_cndmask_b32_e64 v45, v28, v45, s[36:37]                  // 000000007234: D100002D 00925B1C
	v_cmp_le_i32_e64 s[36:37], v189, v27                       // 00000000723C: D0C30024 000237BD
	v_add_u32_e32 v189, 16, v189                               // 000000007244: 697B7A90
	s_nop 0                                                    // 000000007248: BF800000
	v_cndmask_b32_e64 v46, v28, v46, s[36:37]                  // 00000000724C: D100002E 00925D1C
	v_cmp_le_i32_e64 s[36:37], v190, v27                       // 000000007254: D0C30024 000237BE
	v_add_u32_e32 v190, 16, v190                               // 00000000725C: 697D7C90
	s_nop 0                                                    // 000000007260: BF800000
	v_cndmask_b32_e64 v47, v28, v47, s[36:37]                  // 000000007264: D100002F 00925F1C
	v_cmp_le_i32_e64 s[36:37], v187, v27                       // 00000000726C: D0C30024 000237BB
	v_add_u32_e32 v187, 16, v187                               // 000000007274: 69777690
	s_nop 0                                                    // 000000007278: BF800000
	v_cndmask_b32_e64 v48, v28, v48, s[36:37]                  // 00000000727C: D1000030 0092611C
	v_cmp_le_i32_e64 s[36:37], v188, v27                       // 000000007284: D0C30024 000237BC
	v_add_u32_e32 v188, 16, v188                               // 00000000728C: 69797890
	s_nop 0                                                    // 000000007290: BF800000
	v_cndmask_b32_e64 v49, v28, v49, s[36:37]                  // 000000007294: D1000031 0092631C
	v_cmp_le_i32_e64 s[36:37], v189, v27                       // 00000000729C: D0C30024 000237BD
	v_add_u32_e32 v189, 16, v189                               // 0000000072A4: 697B7A90
	s_nop 0                                                    // 0000000072A8: BF800000
	v_cndmask_b32_e64 v50, v28, v50, s[36:37]                  // 0000000072AC: D1000032 0092651C
	v_cmp_le_i32_e64 s[36:37], v190, v27                       // 0000000072B4: D0C30024 000237BE
	v_add_u32_e32 v190, 16, v190                               // 0000000072BC: 697D7C90
	s_nop 0                                                    // 0000000072C0: BF800000
	v_cndmask_b32_e64 v51, v28, v51, s[36:37]                  // 0000000072C4: D1000033 0092671C

00000000000072cc <label_4ECC>:
	s_add_u32 s83, s84, s83                                    // 0000000072CC: 80535354
	s_nop 2                                                    // 0000000072D0: BF800002
	v_mov_b32_e32 v28, v36                                     // 0000000072D4: 7E380324
	v_max3_f32 v28, v36, v37, v28                              // 0000000072D8: D1D3001C 04724B24
	v_max3_f32 v28, v38, v39, v28                              // 0000000072E0: D1D3001C 04724F26
	v_max3_f32 v28, v40, v41, v28                              // 0000000072E8: D1D3001C 04725328
	v_max3_f32 v28, v42, v43, v28                              // 0000000072F0: D1D3001C 0472572A
	v_max3_f32 v28, v44, v45, v28                              // 0000000072F8: D1D3001C 04725B2C
	v_max3_f32 v28, v46, v47, v28                              // 000000007300: D1D3001C 04725F2E
	v_max3_f32 v28, v48, v49, v28                              // 000000007308: D1D3001C 04726330
	v_max3_f32 v28, v50, v51, v28                              // 000000007310: D1D3001C 04726732
	v_mov_b32_e32 v27, v28                                     // 000000007318: 7E36031C
	v_mov_b32_e32 v28, v28                                     // 00000000731C: 7E38031C
	s_nop 1                                                    // 000000007320: BF800001
	v_permlane16_swap_b32_e32 v27, v28                         // 000000007324: 7E36B31C
	v_mov_b32_e32 v30, v27                                     // 000000007328: 7E3C031B
	v_mov_b32_e32 v29, v28                                     // 00000000732C: 7E3A031C
	s_nop 1                                                    // 000000007330: BF800001
	v_permlane32_swap_b32_e32 v27, v28                         // 000000007334: 7E36B51C
	v_permlane32_swap_b32_e32 v29, v30                         // 000000007338: 7E3AB51E
	v_max3_f32 v28, v27, v28, v28                              // 00000000733C: D1D3001C 0472391B
	v_max3_f32 v28, v29, v30, v28                              // 000000007344: D1D3001C 04723D1D
	v_mov_b32_e32 v27, 0xff800000                              // 00000000734C: 7E3602FF FF800000
	v_cmp_eq_u32_e64 s[36:37], v27, v2                         // 000000007354: D0CA0024 0002051B
	v_max_f32_e32 v28, v28, v2                                 // 00000000735C: 1638051C
	v_sub_f32_e32 v18, v2, v28                                 // 000000007360: 04243902
	v_cndmask_b32_e64 v18, v18, 0, s[36:37]                    // 000000007364: D1000012 00910112
	v_mov_b32_e32 v2, v28                                      // 00000000736C: 7E04031C
	v_mul_f32_e32 v28, s5, v28                                 // 000000007370: 0A383805
	v_mul_f32_e32 v18, s5, v18                                 // 000000007374: 0A242405
	v_exp_f32_e32 v18, v18                                     // 000000007378: 7E244112
	v_fma_f32 v36, v36, s5, -v28                               // 00000000737C: D1CB0024 84700B24
	v_fma_f32 v37, v37, s5, -v28                               // 000000007384: D1CB0025 84700B25
	v_fma_f32 v38, v38, s5, -v28                               // 00000000738C: D1CB0026 84700B26
	v_fma_f32 v39, v39, s5, -v28                               // 000000007394: D1CB0027 84700B27
	v_fma_f32 v40, v40, s5, -v28                               // 00000000739C: D1CB0028 84700B28
	v_fma_f32 v41, v41, s5, -v28                               // 0000000073A4: D1CB0029 84700B29
	v_fma_f32 v42, v42, s5, -v28                               // 0000000073AC: D1CB002A 84700B2A
	v_fma_f32 v43, v43, s5, -v28                               // 0000000073B4: D1CB002B 84700B2B
	v_fma_f32 v44, v44, s5, -v28                               // 0000000073BC: D1CB002C 84700B2C
	v_fma_f32 v45, v45, s5, -v28                               // 0000000073C4: D1CB002D 84700B2D
	v_fma_f32 v46, v46, s5, -v28                               // 0000000073CC: D1CB002E 84700B2E
	v_fma_f32 v47, v47, s5, -v28                               // 0000000073D4: D1CB002F 84700B2F
	v_fma_f32 v48, v48, s5, -v28                               // 0000000073DC: D1CB0030 84700B30
	v_fma_f32 v49, v49, s5, -v28                               // 0000000073E4: D1CB0031 84700B31
	v_fma_f32 v50, v50, s5, -v28                               // 0000000073EC: D1CB0032 84700B32
	v_fma_f32 v51, v51, s5, -v28                               // 0000000073F4: D1CB0033 84700B33
	v_exp_f32_e32 v36, v36                                     // 0000000073FC: 7E484124
	v_exp_f32_e32 v37, v37                                     // 000000007400: 7E4A4125
	v_exp_f32_e32 v38, v38                                     // 000000007404: 7E4C4126
	v_exp_f32_e32 v39, v39                                     // 000000007408: 7E4E4127
	v_exp_f32_e32 v40, v40                                     // 00000000740C: 7E504128
	v_exp_f32_e32 v41, v41                                     // 000000007410: 7E524129
	v_exp_f32_e32 v42, v42                                     // 000000007414: 7E54412A
	v_exp_f32_e32 v43, v43                                     // 000000007418: 7E56412B
	v_exp_f32_e32 v44, v44                                     // 00000000741C: 7E58412C
	v_exp_f32_e32 v45, v45                                     // 000000007420: 7E5A412D
	v_exp_f32_e32 v46, v46                                     // 000000007424: 7E5C412E
	v_exp_f32_e32 v47, v47                                     // 000000007428: 7E5E412F
	v_exp_f32_e32 v48, v48                                     // 00000000742C: 7E604130
	v_exp_f32_e32 v49, v49                                     // 000000007430: 7E624131
	v_exp_f32_e32 v50, v50                                     // 000000007434: 7E644132
	v_exp_f32_e32 v51, v51                                     // 000000007438: 7E664133
	v_mul_f32_e32 v4, v18, v4                                  // 00000000743C: 0A080912
	v_mov_b32_e32 v27, v36                                     // 000000007440: 7E360324
	v_add_f32_e32 v27, v37, v27                                // 000000007444: 02363725
	v_add_f32_e32 v27, v38, v27                                // 000000007448: 02363726
	v_add_f32_e32 v27, v39, v27                                // 00000000744C: 02363727
	v_add_f32_e32 v27, v40, v27                                // 000000007450: 02363728
	v_add_f32_e32 v27, v41, v27                                // 000000007454: 02363729
	v_add_f32_e32 v27, v42, v27                                // 000000007458: 0236372A
	v_add_f32_e32 v27, v43, v27                                // 00000000745C: 0236372B
	v_add_f32_e32 v27, v44, v27                                // 000000007460: 0236372C
	v_add_f32_e32 v27, v45, v27                                // 000000007464: 0236372D
	v_add_f32_e32 v27, v46, v27                                // 000000007468: 0236372E
	v_add_f32_e32 v27, v47, v27                                // 00000000746C: 0236372F
	v_add_f32_e32 v27, v48, v27                                // 000000007470: 02363730
	v_add_f32_e32 v27, v49, v27                                // 000000007474: 02363731
	;; [unrolled: 1-line block ×3, first 2 shown]
	v_add_f32_e32 v27, v51, v27                                // 00000000747C: 02363733
	v_add_f32_e32 v4, v27, v4                                  // 000000007480: 0208091B
	v_cvt_pk_fp8_f32 v36, v36, v37                             // 000000007484: D2A20024 00024B24
	v_cvt_pk_fp8_f32 v36, v38, v39 op_sel:[0,0,1]              // 00000000748C: D2A24024 00024F26
	v_cvt_pk_fp8_f32 v37, v40, v41                             // 000000007494: D2A20025 00025328
	v_cvt_pk_fp8_f32 v37, v42, v43 op_sel:[0,0,1]              // 00000000749C: D2A24025 0002572A
	v_cvt_pk_fp8_f32 v38, v44, v45                             // 0000000074A4: D2A20026 00025B2C
	v_cvt_pk_fp8_f32 v38, v46, v47 op_sel:[0,0,1]              // 0000000074AC: D2A24026 00025F2E
	v_cvt_pk_fp8_f32 v39, v48, v49                             // 0000000074B4: D2A20027 00026330
	v_cvt_pk_fp8_f32 v39, v50, v51 op_sel:[0,0,1]              // 0000000074BC: D2A24027 00026732
	s_nop 0                                                    // 0000000074C4: BF800000
	v_permlane16_swap_b32_e32 v36, v37                         // 0000000074C8: 7E48B325
	v_permlane16_swap_b32_e32 v38, v39                         // 0000000074CC: 7E4CB327
	s_nop 0                                                    // 0000000074D0: BF800000
	v_permlane32_swap_b32_e32 v36, v38                         // 0000000074D4: 7E48B526
	v_permlane32_swap_b32_e32 v37, v39                         // 0000000074D8: 7E4AB527
	ds_write_b128 v32, v[36:39]                                // 0000000074DC: D9BE0000 00002420
	s_waitcnt lgkmcnt(0)                                       // 0000000074E4: BF8CC07F
	s_barrier                                                  // 0000000074E8: BF8A0000
	ds_read_b128 v[36:39], v33                                 // 0000000074EC: D9FE0000 24000021
	ds_read_b128 v[40:43], v33 offset:1024                     // 0000000074F4: D9FE0400 28000021
	s_waitcnt lgkmcnt(0)                                       // 0000000074FC: BF8CC07F
	v_permlane16_swap_b32_e32 v36, v40                         // 000000007500: 7E48B328
	v_permlane16_swap_b32_e32 v37, v41                         // 000000007504: 7E4AB329
	v_permlane16_swap_b32_e32 v38, v42                         // 000000007508: 7E4CB32A
	v_permlane16_swap_b32_e32 v39, v43                         // 00000000750C: 7E4EB32B
	v_permlane32_swap_b32_e32 v36, v40                         // 000000007510: 7E48B528
	v_permlane32_swap_b32_e32 v37, v41                         // 000000007514: 7E4AB529
	v_permlane32_swap_b32_e32 v38, v42                         // 000000007518: 7E4CB52A
	v_permlane32_swap_b32_e32 v39, v43                         // 00000000751C: 7E4EB52B
	ds_write_b32 v34, v18                                      // 000000007520: D81A0000 00001222
	s_waitcnt lgkmcnt(0)                                       // 000000007528: BF8CC07F
	s_barrier                                                  // 00000000752C: BF8A0000
	ds_read_b32 v27, v35                                       // 000000007530: D86C0000 1B000023
	s_waitcnt lgkmcnt(0)                                       // 000000007538: BF8CC07F
	v_mul_f32_e32 v56, v27, v56                                // 00000000753C: 0A70711B
	v_mul_f32_e32 v57, v27, v57                                // 000000007540: 0A72731B
	v_mul_f32_e32 v58, v27, v58                                // 000000007544: 0A74751B
	v_mul_f32_e32 v59, v27, v59                                // 000000007548: 0A76771B
	v_mul_f32_e32 v60, v27, v60                                // 00000000754C: 0A78791B
	v_mul_f32_e32 v61, v27, v61                                // 000000007550: 0A7A7B1B
	v_mul_f32_e32 v62, v27, v62                                // 000000007554: 0A7C7D1B
	v_mul_f32_e32 v63, v27, v63                                // 000000007558: 0A7E7F1B
	v_mul_f32_e32 v64, v27, v64                                // 00000000755C: 0A80811B
	v_mul_f32_e32 v65, v27, v65                                // 000000007560: 0A82831B
	v_mul_f32_e32 v66, v27, v66                                // 000000007564: 0A84851B
	v_mul_f32_e32 v67, v27, v67                                // 000000007568: 0A86871B
	v_mul_f32_e32 v68, v27, v68                                // 00000000756C: 0A88891B
	v_mul_f32_e32 v69, v27, v69                                // 000000007570: 0A8A8B1B
	v_mul_f32_e32 v70, v27, v70                                // 000000007574: 0A8C8D1B
	v_mul_f32_e32 v71, v27, v71                                // 000000007578: 0A8E8F1B
	v_mul_f32_e32 v72, v27, v72                                // 00000000757C: 0A90911B
	v_mul_f32_e32 v73, v27, v73                                // 000000007580: 0A92931B
	v_mul_f32_e32 v74, v27, v74                                // 000000007584: 0A94951B
	v_mul_f32_e32 v75, v27, v75                                // 000000007588: 0A96971B
	v_mul_f32_e32 v76, v27, v76                                // 00000000758C: 0A98991B
	v_mul_f32_e32 v77, v27, v77                                // 000000007590: 0A9A9B1B
	v_mul_f32_e32 v78, v27, v78                                // 000000007594: 0A9C9D1B
	v_mul_f32_e32 v79, v27, v79                                // 000000007598: 0A9E9F1B
	v_mul_f32_e32 v80, v27, v80                                // 00000000759C: 0AA0A11B
	v_mul_f32_e32 v81, v27, v81                                // 0000000075A0: 0AA2A31B
	v_mul_f32_e32 v82, v27, v82                                // 0000000075A4: 0AA4A51B
	v_mul_f32_e32 v83, v27, v83                                // 0000000075A8: 0AA6A71B
	v_mul_f32_e32 v84, v27, v84                                // 0000000075AC: 0AA8A91B
	v_mul_f32_e32 v85, v27, v85                                // 0000000075B0: 0AAAAB1B
	v_mul_f32_e32 v86, v27, v86                                // 0000000075B4: 0AACAD1B
	v_mul_f32_e32 v87, v27, v87                                // 0000000075B8: 0AAEAF1B
	v_mul_f32_e32 v88, v27, v88                                // 0000000075BC: 0AB0B11B
	v_mul_f32_e32 v89, v27, v89                                // 0000000075C0: 0AB2B31B
	v_mul_f32_e32 v90, v27, v90                                // 0000000075C4: 0AB4B51B
	v_mul_f32_e32 v91, v27, v91                                // 0000000075C8: 0AB6B71B
	v_mul_f32_e32 v92, v27, v92                                // 0000000075CC: 0AB8B91B
	v_mul_f32_e32 v93, v27, v93                                // 0000000075D0: 0ABABB1B
	v_mul_f32_e32 v94, v27, v94                                // 0000000075D4: 0ABCBD1B
	v_mul_f32_e32 v95, v27, v95                                // 0000000075D8: 0ABEBF1B
	v_mul_f32_e32 v96, v27, v96                                // 0000000075DC: 0AC0C11B
	v_mul_f32_e32 v97, v27, v97                                // 0000000075E0: 0AC2C31B
	v_mul_f32_e32 v98, v27, v98                                // 0000000075E4: 0AC4C51B
	v_mul_f32_e32 v99, v27, v99                                // 0000000075E8: 0AC6C71B
	v_mul_f32_e32 v100, v27, v100                              // 0000000075EC: 0AC8C91B
	v_mul_f32_e32 v101, v27, v101                              // 0000000075F0: 0ACACB1B
	v_mul_f32_e32 v102, v27, v102                              // 0000000075F4: 0ACCCD1B
	v_mul_f32_e32 v103, v27, v103                              // 0000000075F8: 0ACECF1B
	v_mul_f32_e32 v104, v27, v104                              // 0000000075FC: 0AD0D11B
	v_mul_f32_e32 v105, v27, v105                              // 000000007600: 0AD2D31B
	v_mul_f32_e32 v106, v27, v106                              // 000000007604: 0AD4D51B
	v_mul_f32_e32 v107, v27, v107                              // 000000007608: 0AD6D71B
	v_mul_f32_e32 v108, v27, v108                              // 00000000760C: 0AD8D91B
	v_mul_f32_e32 v109, v27, v109                              // 000000007610: 0ADADB1B
	v_mul_f32_e32 v110, v27, v110                              // 000000007614: 0ADCDD1B
	v_mul_f32_e32 v111, v27, v111                              // 000000007618: 0ADEDF1B
	v_mul_f32_e32 v112, v27, v112                              // 00000000761C: 0AE0E11B
	v_mul_f32_e32 v113, v27, v113                              // 000000007620: 0AE2E31B
	v_mul_f32_e32 v114, v27, v114                              // 000000007624: 0AE4E51B
	v_mul_f32_e32 v115, v27, v115                              // 000000007628: 0AE6E71B
	v_mul_f32_e32 v116, v27, v116                              // 00000000762C: 0AE8E91B
	v_mul_f32_e32 v117, v27, v117                              // 000000007630: 0AEAEB1B
	v_mul_f32_e32 v118, v27, v118                              // 000000007634: 0AECED1B
	v_mul_f32_e32 v119, v27, v119                              // 000000007638: 0AEEEF1B
	v_mul_f32_e32 v120, v27, v120                              // 00000000763C: 0AF0F11B
	v_mul_f32_e32 v121, v27, v121                              // 000000007640: 0AF2F31B
	v_mul_f32_e32 v122, v27, v122                              // 000000007644: 0AF4F51B
	v_mul_f32_e32 v123, v27, v123                              // 000000007648: 0AF6F71B
	v_mul_f32_e32 v124, v27, v124                              // 00000000764C: 0AF8F91B
	v_mul_f32_e32 v125, v27, v125                              // 000000007650: 0AFAFB1B
	v_mul_f32_e32 v126, v27, v126                              // 000000007654: 0AFCFD1B
	v_mul_f32_e32 v127, v27, v127                              // 000000007658: 0AFEFF1B
	v_mul_f32_e32 v128, v27, v128                              // 00000000765C: 0B01011B
	v_mul_f32_e32 v129, v27, v129                              // 000000007660: 0B03031B
	v_mul_f32_e32 v130, v27, v130                              // 000000007664: 0B05051B
	v_mul_f32_e32 v131, v27, v131                              // 000000007668: 0B07071B
	v_mul_f32_e32 v132, v27, v132                              // 00000000766C: 0B09091B
	v_mul_f32_e32 v133, v27, v133                              // 000000007670: 0B0B0B1B
	v_mul_f32_e32 v134, v27, v134                              // 000000007674: 0B0D0D1B
	v_mul_f32_e32 v135, v27, v135                              // 000000007678: 0B0F0F1B
	v_mul_f32_e32 v136, v27, v136                              // 00000000767C: 0B11111B
	v_mul_f32_e32 v137, v27, v137                              // 000000007680: 0B13131B
	v_mul_f32_e32 v138, v27, v138                              // 000000007684: 0B15151B
	v_mul_f32_e32 v139, v27, v139                              // 000000007688: 0B17171B
	v_mul_f32_e32 v140, v27, v140                              // 00000000768C: 0B19191B
	v_mul_f32_e32 v141, v27, v141                              // 000000007690: 0B1B1B1B
	v_mul_f32_e32 v142, v27, v142                              // 000000007694: 0B1D1D1B
	v_mul_f32_e32 v143, v27, v143                              // 000000007698: 0B1F1F1B
	v_mul_f32_e32 v144, v27, v144                              // 00000000769C: 0B21211B
	v_mul_f32_e32 v145, v27, v145                              // 0000000076A0: 0B23231B
	v_mul_f32_e32 v146, v27, v146                              // 0000000076A4: 0B25251B
	v_mul_f32_e32 v147, v27, v147                              // 0000000076A8: 0B27271B
	v_mul_f32_e32 v148, v27, v148                              // 0000000076AC: 0B29291B
	v_mul_f32_e32 v149, v27, v149                              // 0000000076B0: 0B2B2B1B
	v_mul_f32_e32 v150, v27, v150                              // 0000000076B4: 0B2D2D1B
	v_mul_f32_e32 v151, v27, v151                              // 0000000076B8: 0B2F2F1B
	v_mul_f32_e32 v152, v27, v152                              // 0000000076BC: 0B31311B
	v_mul_f32_e32 v153, v27, v153                              // 0000000076C0: 0B33331B
	v_mul_f32_e32 v154, v27, v154                              // 0000000076C4: 0B35351B
	v_mul_f32_e32 v155, v27, v155                              // 0000000076C8: 0B37371B
	v_mul_f32_e32 v156, v27, v156                              // 0000000076CC: 0B39391B
	v_mul_f32_e32 v157, v27, v157                              // 0000000076D0: 0B3B3B1B
	v_mul_f32_e32 v158, v27, v158                              // 0000000076D4: 0B3D3D1B
	v_mul_f32_e32 v159, v27, v159                              // 0000000076D8: 0B3F3F1B
	v_mul_f32_e32 v160, v27, v160                              // 0000000076DC: 0B41411B
	v_mul_f32_e32 v161, v27, v161                              // 0000000076E0: 0B43431B
	v_mul_f32_e32 v162, v27, v162                              // 0000000076E4: 0B45451B
	v_mul_f32_e32 v163, v27, v163                              // 0000000076E8: 0B47471B
	v_mul_f32_e32 v164, v27, v164                              // 0000000076EC: 0B49491B
	v_mul_f32_e32 v165, v27, v165                              // 0000000076F0: 0B4B4B1B
	v_mul_f32_e32 v166, v27, v166                              // 0000000076F4: 0B4D4D1B
	v_mul_f32_e32 v167, v27, v167                              // 0000000076F8: 0B4F4F1B
	v_mul_f32_e32 v168, v27, v168                              // 0000000076FC: 0B51511B
	v_mul_f32_e32 v169, v27, v169                              // 000000007700: 0B53531B
	v_mul_f32_e32 v170, v27, v170                              // 000000007704: 0B55551B
	v_mul_f32_e32 v171, v27, v171                              // 000000007708: 0B57571B
	v_mul_f32_e32 v172, v27, v172                              // 00000000770C: 0B59591B
	v_mul_f32_e32 v173, v27, v173                              // 000000007710: 0B5B5B1B
	v_mul_f32_e32 v174, v27, v174                              // 000000007714: 0B5D5D1B
	v_mul_f32_e32 v175, v27, v175                              // 000000007718: 0B5F5F1B
	v_mul_f32_e32 v176, v27, v176                              // 00000000771C: 0B61611B
	v_mul_f32_e32 v177, v27, v177                              // 000000007720: 0B63631B
	v_mul_f32_e32 v178, v27, v178                              // 000000007724: 0B65651B
	v_mul_f32_e32 v179, v27, v179                              // 000000007728: 0B67671B
	v_mul_f32_e32 v180, v27, v180                              // 00000000772C: 0B69691B
	v_mul_f32_e32 v181, v27, v181                              // 000000007730: 0B6B6B1B
	v_mul_f32_e32 v182, v27, v182                              // 000000007734: 0B6D6D1B
	v_mul_f32_e32 v183, v27, v183                              // 000000007738: 0B6F6F1B
	v_mfma_f32_32x32x64_f8f6f4 v[56:71], a[120:127], v[36:43], v[56:71]// 00000000773C: D3AE0038 0CE24978
	v_mfma_f32_32x32x64_f8f6f4 v[72:87], a[128:135], v[36:43], v[72:87]// 000000007744: D3AE0048 0D224980
	v_mfma_f32_32x32x64_f8f6f4 v[88:103], a[136:143], v[36:43], v[88:103]// 00000000774C: D3AE0058 0D624988
	v_mfma_f32_32x32x64_f8f6f4 v[104:119], a[144:151], v[36:43], v[104:119]// 000000007754: D3AE0068 0DA24990
	v_mfma_f32_32x32x64_f8f6f4 v[120:135], a[152:159], v[36:43], v[120:135]// 00000000775C: D3AE0078 0DE24998
	v_mfma_f32_32x32x64_f8f6f4 v[136:151], a[160:167], v[36:43], v[136:151]// 000000007764: D3AE0088 0E2249A0
	v_mfma_f32_32x32x64_f8f6f4 v[152:167], a[168:175], v[36:43], v[152:167]// 00000000776C: D3AE0098 0E6249A8
	v_mfma_f32_32x32x64_f8f6f4 v[168:183], a[176:183], v[36:43], v[168:183]// 000000007774: D3AE00A8 0EA249B0
	s_waitcnt lgkmcnt(0)                                       // 00000000777C: BF8CC07F
	s_nop 8                                                    // 000000007780: BF800008
	s_branch label_6A40                                        // 000000007784: BF82052C

0000000000007788 <label_5388>:
	s_waitcnt lgkmcnt(4)                                       // 000000007788: BF8CC47F
	v_mfma_f32_16x16x128_f8f6f4 v[36:39], a[40:47], a[0:7], 0  // 00000000778C: D3AD0024 1A020128
	ds_read_b128 a[40:43], v21 offset:18432                    // 000000007794: DBFE4800 28000015
	v_mfma_f32_16x16x128_f8f6f4 v[36:39], a[48:55], a[8:15], v[36:39]// 00000000779C: D3AD0024 1C921130
	ds_read_b128 a[44:47], v21 offset:19456                    // 0000000077A4: DBFE4C00 2C000015
	v_mfma_f32_16x16x128_f8f6f4 v[36:39], a[56:63], a[16:23], v[36:39]// 0000000077AC: D3AD0024 1C922138
	ds_read_b128 a[48:51], v21 offset:20480                    // 0000000077B4: DBFE5000 30000015
	v_mfma_f32_16x16x128_f8f6f4 v[36:39], a[64:71], a[24:31], v[36:39]// 0000000077BC: D3AD0024 1C923140
	ds_read_b128 a[52:55], v21 offset:21504                    // 0000000077C4: DBFE5400 34000015
	v_mfma_f32_16x16x128_f8f6f4 v[36:39], a[72:79], a[32:39], v[36:39]// 0000000077CC: D3AD0024 1C924148
	ds_read_b128 a[56:59], v21 offset:22528                    // 0000000077D4: DBFE5800 38000015
	v_mfma_f32_16x16x128_f8f6f4 v[40:43], a[80:87], a[0:7], 0  // 0000000077DC: D3AD0028 1A020150
	ds_read_b128 a[60:63], v21 offset:23552                    // 0000000077E4: DBFE5C00 3C000015
	v_mfma_f32_16x16x128_f8f6f4 v[40:43], a[88:95], a[8:15], v[40:43]// 0000000077EC: D3AD0028 1CA21158
	ds_read_b128 a[64:67], v21 offset:24576                    // 0000000077F4: DBFE6000 40000015
	v_mfma_f32_16x16x128_f8f6f4 v[40:43], a[96:103], a[16:23], v[40:43]// 0000000077FC: D3AD0028 1CA22160
	ds_read_b128 a[68:71], v21 offset:25600                    // 000000007804: DBFE6400 44000015
	v_mfma_f32_16x16x128_f8f6f4 v[40:43], a[104:111], a[24:31], v[40:43]// 00000000780C: D3AD0028 1CA23168
	ds_read_b128 a[72:75], v21 offset:26624                    // 000000007814: DBFE6800 48000015
	v_mfma_f32_16x16x128_f8f6f4 v[40:43], a[112:119], a[32:39], v[40:43]// 00000000781C: D3AD0028 1CA24170
	ds_read_b128 a[80:83], v21 offset:27648                    // 000000007824: DBFE6C00 50000015
	ds_read_b128 a[84:87], v21 offset:28672                    // 00000000782C: DBFE7000 54000015
	ds_read_b128 a[88:91], v21 offset:29696                    // 000000007834: DBFE7400 58000015
	ds_read_b128 a[92:95], v21 offset:30720                    // 00000000783C: DBFE7800 5C000015
	ds_read_b128 a[96:99], v21 offset:31744                    // 000000007844: DBFE7C00 60000015
	ds_read_b128 a[100:103], v21 offset:32768                  // 00000000784C: DBFE8000 64000015
	ds_read_b128 a[104:107], v21 offset:33792                  // 000000007854: DBFE8400 68000015
	ds_read_b128 a[108:111], v21 offset:34816                  // 00000000785C: DBFE8800 6C000015
	ds_read_b128 a[112:115], v21 offset:35840                  // 000000007864: DBFE8C00 70000015
	s_waitcnt lgkmcnt(0)                                       // 00000000786C: BF8CC07F
	v_mfma_f32_16x16x128_f8f6f4 v[44:47], a[40:47], a[0:7], 0  // 000000007870: D3AD002C 1A020128
	ds_read_b64_tr_b8 a[120:121], v10                          // 000000007878: DBC40000 7800000A
	ds_read_b64_tr_b8 a[122:123], v11                          // 000000007880: DBC40000 7A00000B
	ds_read_b64_tr_b8 a[124:125], v10 offset:18432             // 000000007888: DBC44800 7C00000A
	ds_read_b64_tr_b8 a[126:127], v11 offset:18432             // 000000007890: DBC44800 7E00000B
	v_mfma_f32_16x16x128_f8f6f4 v[44:47], a[48:55], a[8:15], v[44:47]// 000000007898: D3AD002C 1CB21130
	ds_read_b64_tr_b8 a[128:129], v12                          // 0000000078A0: DBC40000 8000000C
	ds_read_b64_tr_b8 a[130:131], v13                          // 0000000078A8: DBC40000 8200000D
	ds_read_b64_tr_b8 a[132:133], v12 offset:18432             // 0000000078B0: DBC44800 8400000C
	ds_read_b64_tr_b8 a[134:135], v13 offset:18432             // 0000000078B8: DBC44800 8600000D
	v_mfma_f32_16x16x128_f8f6f4 v[44:47], a[56:63], a[16:23], v[44:47]// 0000000078C0: D3AD002C 1CB22138
	ds_read_b64_tr_b8 a[136:137], v10 offset:1024              // 0000000078C8: DBC40400 8800000A
	ds_read_b64_tr_b8 a[138:139], v11 offset:1024              // 0000000078D0: DBC40400 8A00000B
	ds_read_b64_tr_b8 a[140:141], v10 offset:19456             // 0000000078D8: DBC44C00 8C00000A
	ds_read_b64_tr_b8 a[142:143], v11 offset:19456             // 0000000078E0: DBC44C00 8E00000B
	v_mfma_f32_16x16x128_f8f6f4 v[44:47], a[64:71], a[24:31], v[44:47]// 0000000078E8: D3AD002C 1CB23140
	ds_read_b64_tr_b8 a[144:145], v12 offset:1024              // 0000000078F0: DBC40400 9000000C
	ds_read_b64_tr_b8 a[146:147], v13 offset:1024              // 0000000078F8: DBC40400 9200000D
	ds_read_b64_tr_b8 a[148:149], v12 offset:19456             // 000000007900: DBC44C00 9400000C
	ds_read_b64_tr_b8 a[150:151], v13 offset:19456             // 000000007908: DBC44C00 9600000D
	v_mfma_f32_16x16x128_f8f6f4 v[44:47], a[72:79], a[32:39], v[44:47]// 000000007910: D3AD002C 1CB24148
	ds_read_b64_tr_b8 a[152:153], v10 offset:2048              // 000000007918: DBC40800 9800000A
	ds_read_b64_tr_b8 a[154:155], v11 offset:2048              // 000000007920: DBC40800 9A00000B
	ds_read_b64_tr_b8 a[156:157], v10 offset:20480             // 000000007928: DBC45000 9C00000A
	ds_read_b64_tr_b8 a[158:159], v11 offset:20480             // 000000007930: DBC45000 9E00000B
	v_mfma_f32_16x16x128_f8f6f4 v[48:51], a[80:87], a[0:7], 0  // 000000007938: D3AD0030 1A020150
	ds_read_b64_tr_b8 a[160:161], v12 offset:2048              // 000000007940: DBC40800 A000000C
	ds_read_b64_tr_b8 a[162:163], v13 offset:2048              // 000000007948: DBC40800 A200000D
	ds_read_b64_tr_b8 a[164:165], v12 offset:20480             // 000000007950: DBC45000 A400000C
	ds_read_b64_tr_b8 a[166:167], v13 offset:20480             // 000000007958: DBC45000 A600000D
	v_mfma_f32_16x16x128_f8f6f4 v[48:51], a[88:95], a[8:15], v[48:51]// 000000007960: D3AD0030 1CC21158
	ds_read_b64_tr_b8 a[168:169], v10 offset:3072              // 000000007968: DBC40C00 A800000A
	ds_read_b64_tr_b8 a[170:171], v11 offset:3072              // 000000007970: DBC40C00 AA00000B
	ds_read_b64_tr_b8 a[172:173], v10 offset:21504             // 000000007978: DBC45400 AC00000A
	ds_read_b64_tr_b8 a[174:175], v11 offset:21504             // 000000007980: DBC45400 AE00000B
	v_mfma_f32_16x16x128_f8f6f4 v[48:51], a[96:103], a[16:23], v[48:51]// 000000007988: D3AD0030 1CC22160
	ds_read_b64_tr_b8 a[176:177], v12 offset:3072              // 000000007990: DBC40C00 B000000C
	ds_read_b64_tr_b8 a[178:179], v13 offset:3072              // 000000007998: DBC40C00 B200000D
	ds_read_b64_tr_b8 a[180:181], v12 offset:21504             // 0000000079A0: DBC45400 B400000C
	ds_read_b64_tr_b8 a[182:183], v13 offset:21504             // 0000000079A8: DBC45400 B600000D
	v_mfma_f32_16x16x128_f8f6f4 v[48:51], a[104:111], a[24:31], v[48:51]// 0000000079B0: D3AD0030 1CC23168
	v_mfma_f32_16x16x128_f8f6f4 v[48:51], a[112:119], a[32:39], v[48:51]// 0000000079B8: D3AD0030 1CC24170
	s_nop 8                                                    // 0000000079C0: BF800008
	s_and_b32 s56, s48, 0xff                                   // 0000000079C4: 8638FF30 000000FF
	v_mov_b32_e32 v28, s56                                     // 0000000079CC: 7E380238
	v_lshrrev_b32_e32 v187, 4, v0                              // 0000000079D0: 21760084
	v_mul_i32_i24_e32 v187, 4, v187                            // 0000000079D4: 0D777684
	v_add_u32_e32 v188, 1, v187                                // 0000000079D8: 69797681
	v_add_u32_e32 v189, 2, v187                                // 0000000079DC: 697B7682
	v_add_u32_e32 v190, 3, v187                                // 0000000079E0: 697D7683
	v_mov_b32_e32 v27, 0xff800000                              // 0000000079E4: 7E3602FF FF800000
	v_cmp_lt_u32_e64 s[36:37], v187, v28                       // 0000000079EC: D0C90024 000239BB
	v_add_u32_e32 v187, 16, v187                               // 0000000079F4: 69777690
	s_nop 0                                                    // 0000000079F8: BF800000
	v_cndmask_b32_e64 v36, v27, v36, s[36:37]                  // 0000000079FC: D1000024 0092491B
	v_cmp_lt_u32_e64 s[36:37], v188, v28                       // 000000007A04: D0C90024 000239BC
	v_add_u32_e32 v188, 16, v188                               // 000000007A0C: 69797890
	s_nop 0                                                    // 000000007A10: BF800000
	v_cndmask_b32_e64 v37, v27, v37, s[36:37]                  // 000000007A14: D1000025 00924B1B
	v_cmp_lt_u32_e64 s[36:37], v189, v28                       // 000000007A1C: D0C90024 000239BD
	v_add_u32_e32 v189, 16, v189                               // 000000007A24: 697B7A90
	s_nop 0                                                    // 000000007A28: BF800000
	v_cndmask_b32_e64 v38, v27, v38, s[36:37]                  // 000000007A2C: D1000026 00924D1B
	v_cmp_lt_u32_e64 s[36:37], v190, v28                       // 000000007A34: D0C90024 000239BE
	v_add_u32_e32 v190, 16, v190                               // 000000007A3C: 697D7C90
	s_nop 0                                                    // 000000007A40: BF800000
	v_cndmask_b32_e64 v39, v27, v39, s[36:37]                  // 000000007A44: D1000027 00924F1B
	v_cmp_lt_u32_e64 s[36:37], v187, v28                       // 000000007A4C: D0C90024 000239BB
	v_add_u32_e32 v187, 16, v187                               // 000000007A54: 69777690
	s_nop 0                                                    // 000000007A58: BF800000
	v_cndmask_b32_e64 v40, v27, v40, s[36:37]                  // 000000007A5C: D1000028 0092511B
	v_cmp_lt_u32_e64 s[36:37], v188, v28                       // 000000007A64: D0C90024 000239BC
	v_add_u32_e32 v188, 16, v188                               // 000000007A6C: 69797890
	s_nop 0                                                    // 000000007A70: BF800000
	v_cndmask_b32_e64 v41, v27, v41, s[36:37]                  // 000000007A74: D1000029 0092531B
	v_cmp_lt_u32_e64 s[36:37], v189, v28                       // 000000007A7C: D0C90024 000239BD
	v_add_u32_e32 v189, 16, v189                               // 000000007A84: 697B7A90
	s_nop 0                                                    // 000000007A88: BF800000
	v_cndmask_b32_e64 v42, v27, v42, s[36:37]                  // 000000007A8C: D100002A 0092551B
	v_cmp_lt_u32_e64 s[36:37], v190, v28                       // 000000007A94: D0C90024 000239BE
	v_add_u32_e32 v190, 16, v190                               // 000000007A9C: 697D7C90
	s_nop 0                                                    // 000000007AA0: BF800000
	v_cndmask_b32_e64 v43, v27, v43, s[36:37]                  // 000000007AA4: D100002B 0092571B
	v_cmp_lt_u32_e64 s[36:37], v187, v28                       // 000000007AAC: D0C90024 000239BB
	v_add_u32_e32 v187, 16, v187                               // 000000007AB4: 69777690
	s_nop 0                                                    // 000000007AB8: BF800000
	v_cndmask_b32_e64 v44, v27, v44, s[36:37]                  // 000000007ABC: D100002C 0092591B
	v_cmp_lt_u32_e64 s[36:37], v188, v28                       // 000000007AC4: D0C90024 000239BC
	v_add_u32_e32 v188, 16, v188                               // 000000007ACC: 69797890
	s_nop 0                                                    // 000000007AD0: BF800000
	v_cndmask_b32_e64 v45, v27, v45, s[36:37]                  // 000000007AD4: D100002D 00925B1B
	v_cmp_lt_u32_e64 s[36:37], v189, v28                       // 000000007ADC: D0C90024 000239BD
	v_add_u32_e32 v189, 16, v189                               // 000000007AE4: 697B7A90
	s_nop 0                                                    // 000000007AE8: BF800000
	v_cndmask_b32_e64 v46, v27, v46, s[36:37]                  // 000000007AEC: D100002E 00925D1B
	v_cmp_lt_u32_e64 s[36:37], v190, v28                       // 000000007AF4: D0C90024 000239BE
	v_add_u32_e32 v190, 16, v190                               // 000000007AFC: 697D7C90
	s_nop 0                                                    // 000000007B00: BF800000
	v_cndmask_b32_e64 v47, v27, v47, s[36:37]                  // 000000007B04: D100002F 00925F1B
	v_cmp_lt_u32_e64 s[36:37], v187, v28                       // 000000007B0C: D0C90024 000239BB
	v_add_u32_e32 v187, 16, v187                               // 000000007B14: 69777690
	s_nop 0                                                    // 000000007B18: BF800000
	v_cndmask_b32_e64 v48, v27, v48, s[36:37]                  // 000000007B1C: D1000030 0092611B
	v_cmp_lt_u32_e64 s[36:37], v188, v28                       // 000000007B24: D0C90024 000239BC
	v_add_u32_e32 v188, 16, v188                               // 000000007B2C: 69797890
	s_nop 0                                                    // 000000007B30: BF800000
	v_cndmask_b32_e64 v49, v27, v49, s[36:37]                  // 000000007B34: D1000031 0092631B
	v_cmp_lt_u32_e64 s[36:37], v189, v28                       // 000000007B3C: D0C90024 000239BD
	v_add_u32_e32 v189, 16, v189                               // 000000007B44: 697B7A90
	s_nop 0                                                    // 000000007B48: BF800000
	v_cndmask_b32_e64 v50, v27, v50, s[36:37]                  // 000000007B4C: D1000032 0092651B
	v_cmp_lt_u32_e64 s[36:37], v190, v28                       // 000000007B54: D0C90024 000239BE
	v_add_u32_e32 v190, 16, v190                               // 000000007B5C: 697D7C90
	s_nop 0                                                    // 000000007B60: BF800000
	v_cndmask_b32_e64 v51, v27, v51, s[36:37]                  // 000000007B64: D1000033 0092671B
	s_cmp_le_i32 s83, s82                                      // 000000007B6C: BF055253
	s_cbranch_scc1 label_5924                                  // 000000007B70: BF85006C
	v_mov_b32_e32 v27, s82                                     // 000000007B74: 7E360252
	v_add_i32 v27, s7, v27                                     // 000000007B78: D29C001B 00023607
	s_sub_u32 s56, s83, 63                                     // 000000007B80: 80B8BF53
	v_lshrrev_b32_e32 v187, 4, v0                              // 000000007B84: 21760084
	v_mul_i32_i24_e32 v187, 4, v187                            // 000000007B88: 0D777684
	v_add_u32_e32 v187, s56, v187                              // 000000007B8C: 69777638
	v_add_u32_e32 v188, 1, v187                                // 000000007B90: 69797681
	v_add_u32_e32 v189, 2, v187                                // 000000007B94: 697B7682
	v_add_u32_e32 v190, 3, v187                                // 000000007B98: 697D7683
	v_mov_b32_e32 v28, 0xff800000                              // 000000007B9C: 7E3802FF FF800000
	v_cmp_le_i32_e64 s[36:37], v187, v27                       // 000000007BA4: D0C30024 000237BB
	v_add_u32_e32 v187, 16, v187                               // 000000007BAC: 69777690
	s_nop 0                                                    // 000000007BB0: BF800000
	v_cndmask_b32_e64 v36, v28, v36, s[36:37]                  // 000000007BB4: D1000024 0092491C
	v_cmp_le_i32_e64 s[36:37], v188, v27                       // 000000007BBC: D0C30024 000237BC
	v_add_u32_e32 v188, 16, v188                               // 000000007BC4: 69797890
	s_nop 0                                                    // 000000007BC8: BF800000
	v_cndmask_b32_e64 v37, v28, v37, s[36:37]                  // 000000007BCC: D1000025 00924B1C
	v_cmp_le_i32_e64 s[36:37], v189, v27                       // 000000007BD4: D0C30024 000237BD
	v_add_u32_e32 v189, 16, v189                               // 000000007BDC: 697B7A90
	s_nop 0                                                    // 000000007BE0: BF800000
	v_cndmask_b32_e64 v38, v28, v38, s[36:37]                  // 000000007BE4: D1000026 00924D1C
	v_cmp_le_i32_e64 s[36:37], v190, v27                       // 000000007BEC: D0C30024 000237BE
	v_add_u32_e32 v190, 16, v190                               // 000000007BF4: 697D7C90
	s_nop 0                                                    // 000000007BF8: BF800000
	v_cndmask_b32_e64 v39, v28, v39, s[36:37]                  // 000000007BFC: D1000027 00924F1C
	v_cmp_le_i32_e64 s[36:37], v187, v27                       // 000000007C04: D0C30024 000237BB
	v_add_u32_e32 v187, 16, v187                               // 000000007C0C: 69777690
	s_nop 0                                                    // 000000007C10: BF800000
	v_cndmask_b32_e64 v40, v28, v40, s[36:37]                  // 000000007C14: D1000028 0092511C
	v_cmp_le_i32_e64 s[36:37], v188, v27                       // 000000007C1C: D0C30024 000237BC
	v_add_u32_e32 v188, 16, v188                               // 000000007C24: 69797890
	s_nop 0                                                    // 000000007C28: BF800000
	v_cndmask_b32_e64 v41, v28, v41, s[36:37]                  // 000000007C2C: D1000029 0092531C
	v_cmp_le_i32_e64 s[36:37], v189, v27                       // 000000007C34: D0C30024 000237BD
	v_add_u32_e32 v189, 16, v189                               // 000000007C3C: 697B7A90
	s_nop 0                                                    // 000000007C40: BF800000
	v_cndmask_b32_e64 v42, v28, v42, s[36:37]                  // 000000007C44: D100002A 0092551C
	v_cmp_le_i32_e64 s[36:37], v190, v27                       // 000000007C4C: D0C30024 000237BE
	v_add_u32_e32 v190, 16, v190                               // 000000007C54: 697D7C90
	s_nop 0                                                    // 000000007C58: BF800000
	v_cndmask_b32_e64 v43, v28, v43, s[36:37]                  // 000000007C5C: D100002B 0092571C
	v_cmp_le_i32_e64 s[36:37], v187, v27                       // 000000007C64: D0C30024 000237BB
	v_add_u32_e32 v187, 16, v187                               // 000000007C6C: 69777690
	s_nop 0                                                    // 000000007C70: BF800000
	v_cndmask_b32_e64 v44, v28, v44, s[36:37]                  // 000000007C74: D100002C 0092591C
	v_cmp_le_i32_e64 s[36:37], v188, v27                       // 000000007C7C: D0C30024 000237BC
	v_add_u32_e32 v188, 16, v188                               // 000000007C84: 69797890
	s_nop 0                                                    // 000000007C88: BF800000
	v_cndmask_b32_e64 v45, v28, v45, s[36:37]                  // 000000007C8C: D100002D 00925B1C
	v_cmp_le_i32_e64 s[36:37], v189, v27                       // 000000007C94: D0C30024 000237BD
	v_add_u32_e32 v189, 16, v189                               // 000000007C9C: 697B7A90
	s_nop 0                                                    // 000000007CA0: BF800000
	v_cndmask_b32_e64 v46, v28, v46, s[36:37]                  // 000000007CA4: D100002E 00925D1C
	v_cmp_le_i32_e64 s[36:37], v190, v27                       // 000000007CAC: D0C30024 000237BE
	v_add_u32_e32 v190, 16, v190                               // 000000007CB4: 697D7C90
	s_nop 0                                                    // 000000007CB8: BF800000
	v_cndmask_b32_e64 v47, v28, v47, s[36:37]                  // 000000007CBC: D100002F 00925F1C
	v_cmp_le_i32_e64 s[36:37], v187, v27                       // 000000007CC4: D0C30024 000237BB
	v_add_u32_e32 v187, 16, v187                               // 000000007CCC: 69777690
	s_nop 0                                                    // 000000007CD0: BF800000
	v_cndmask_b32_e64 v48, v28, v48, s[36:37]                  // 000000007CD4: D1000030 0092611C
	v_cmp_le_i32_e64 s[36:37], v188, v27                       // 000000007CDC: D0C30024 000237BC
	v_add_u32_e32 v188, 16, v188                               // 000000007CE4: 69797890
	s_nop 0                                                    // 000000007CE8: BF800000
	v_cndmask_b32_e64 v49, v28, v49, s[36:37]                  // 000000007CEC: D1000031 0092631C
	v_cmp_le_i32_e64 s[36:37], v189, v27                       // 000000007CF4: D0C30024 000237BD
	v_add_u32_e32 v189, 16, v189                               // 000000007CFC: 697B7A90
	s_nop 0                                                    // 000000007D00: BF800000
	v_cndmask_b32_e64 v50, v28, v50, s[36:37]                  // 000000007D04: D1000032 0092651C
	v_cmp_le_i32_e64 s[36:37], v190, v27                       // 000000007D0C: D0C30024 000237BE
	v_add_u32_e32 v190, 16, v190                               // 000000007D14: 697D7C90
	s_nop 0                                                    // 000000007D18: BF800000
	v_cndmask_b32_e64 v51, v28, v51, s[36:37]                  // 000000007D1C: D1000033 0092671C

0000000000007d24 <label_5924>:
	s_add_u32 s83, s84, s83                                    // 000000007D24: 80535354
	s_nop 2                                                    // 000000007D28: BF800002
	v_mov_b32_e32 v28, v36                                     // 000000007D2C: 7E380324
	v_max3_f32 v28, v36, v37, v28                              // 000000007D30: D1D3001C 04724B24
	v_max3_f32 v28, v38, v39, v28                              // 000000007D38: D1D3001C 04724F26
	v_max3_f32 v28, v40, v41, v28                              // 000000007D40: D1D3001C 04725328
	v_max3_f32 v28, v42, v43, v28                              // 000000007D48: D1D3001C 0472572A
	v_max3_f32 v28, v44, v45, v28                              // 000000007D50: D1D3001C 04725B2C
	v_max3_f32 v28, v46, v47, v28                              // 000000007D58: D1D3001C 04725F2E
	v_max3_f32 v28, v48, v49, v28                              // 000000007D60: D1D3001C 04726330
	v_max3_f32 v28, v50, v51, v28                              // 000000007D68: D1D3001C 04726732
	v_mov_b32_e32 v27, v28                                     // 000000007D70: 7E36031C
	v_mov_b32_e32 v28, v28                                     // 000000007D74: 7E38031C
	s_nop 1                                                    // 000000007D78: BF800001
	v_permlane16_swap_b32_e32 v27, v28                         // 000000007D7C: 7E36B31C
	v_mov_b32_e32 v30, v27                                     // 000000007D80: 7E3C031B
	v_mov_b32_e32 v29, v28                                     // 000000007D84: 7E3A031C
	s_nop 1                                                    // 000000007D88: BF800001
	v_permlane32_swap_b32_e32 v27, v28                         // 000000007D8C: 7E36B51C
	v_permlane32_swap_b32_e32 v29, v30                         // 000000007D90: 7E3AB51E
	v_max3_f32 v28, v27, v28, v28                              // 000000007D94: D1D3001C 0472391B
	v_max3_f32 v28, v29, v30, v28                              // 000000007D9C: D1D3001C 04723D1D
	v_mov_b32_e32 v27, 0xff800000                              // 000000007DA4: 7E3602FF FF800000
	v_cmp_eq_u32_e64 s[36:37], v27, v2                         // 000000007DAC: D0CA0024 0002051B
	v_max_f32_e32 v28, v28, v2                                 // 000000007DB4: 1638051C
	v_sub_f32_e32 v18, v2, v28                                 // 000000007DB8: 04243902
	v_cndmask_b32_e64 v18, v18, 0, s[36:37]                    // 000000007DBC: D1000012 00910112
	v_mov_b32_e32 v2, v28                                      // 000000007DC4: 7E04031C
	v_mul_f32_e32 v28, s5, v28                                 // 000000007DC8: 0A383805
	v_mul_f32_e32 v18, s5, v18                                 // 000000007DCC: 0A242405
	v_exp_f32_e32 v18, v18                                     // 000000007DD0: 7E244112
	v_fma_f32 v36, v36, s5, -v28                               // 000000007DD4: D1CB0024 84700B24
	v_fma_f32 v37, v37, s5, -v28                               // 000000007DDC: D1CB0025 84700B25
	v_fma_f32 v38, v38, s5, -v28                               // 000000007DE4: D1CB0026 84700B26
	v_fma_f32 v39, v39, s5, -v28                               // 000000007DEC: D1CB0027 84700B27
	v_fma_f32 v40, v40, s5, -v28                               // 000000007DF4: D1CB0028 84700B28
	v_fma_f32 v41, v41, s5, -v28                               // 000000007DFC: D1CB0029 84700B29
	v_fma_f32 v42, v42, s5, -v28                               // 000000007E04: D1CB002A 84700B2A
	v_fma_f32 v43, v43, s5, -v28                               // 000000007E0C: D1CB002B 84700B2B
	v_fma_f32 v44, v44, s5, -v28                               // 000000007E14: D1CB002C 84700B2C
	v_fma_f32 v45, v45, s5, -v28                               // 000000007E1C: D1CB002D 84700B2D
	v_fma_f32 v46, v46, s5, -v28                               // 000000007E24: D1CB002E 84700B2E
	v_fma_f32 v47, v47, s5, -v28                               // 000000007E2C: D1CB002F 84700B2F
	v_fma_f32 v48, v48, s5, -v28                               // 000000007E34: D1CB0030 84700B30
	v_fma_f32 v49, v49, s5, -v28                               // 000000007E3C: D1CB0031 84700B31
	v_fma_f32 v50, v50, s5, -v28                               // 000000007E44: D1CB0032 84700B32
	v_fma_f32 v51, v51, s5, -v28                               // 000000007E4C: D1CB0033 84700B33
	v_exp_f32_e32 v36, v36                                     // 000000007E54: 7E484124
	v_exp_f32_e32 v37, v37                                     // 000000007E58: 7E4A4125
	v_exp_f32_e32 v38, v38                                     // 000000007E5C: 7E4C4126
	v_exp_f32_e32 v39, v39                                     // 000000007E60: 7E4E4127
	v_exp_f32_e32 v40, v40                                     // 000000007E64: 7E504128
	v_exp_f32_e32 v41, v41                                     // 000000007E68: 7E524129
	v_exp_f32_e32 v42, v42                                     // 000000007E6C: 7E54412A
	v_exp_f32_e32 v43, v43                                     // 000000007E70: 7E56412B
	v_exp_f32_e32 v44, v44                                     // 000000007E74: 7E58412C
	v_exp_f32_e32 v45, v45                                     // 000000007E78: 7E5A412D
	v_exp_f32_e32 v46, v46                                     // 000000007E7C: 7E5C412E
	v_exp_f32_e32 v47, v47                                     // 000000007E80: 7E5E412F
	v_exp_f32_e32 v48, v48                                     // 000000007E84: 7E604130
	v_exp_f32_e32 v49, v49                                     // 000000007E88: 7E624131
	v_exp_f32_e32 v50, v50                                     // 000000007E8C: 7E644132
	v_exp_f32_e32 v51, v51                                     // 000000007E90: 7E664133
	v_mul_f32_e32 v4, v18, v4                                  // 000000007E94: 0A080912
	v_mov_b32_e32 v27, v36                                     // 000000007E98: 7E360324
	v_add_f32_e32 v27, v37, v27                                // 000000007E9C: 02363725
	v_add_f32_e32 v27, v38, v27                                // 000000007EA0: 02363726
	v_add_f32_e32 v27, v39, v27                                // 000000007EA4: 02363727
	v_add_f32_e32 v27, v40, v27                                // 000000007EA8: 02363728
	v_add_f32_e32 v27, v41, v27                                // 000000007EAC: 02363729
	v_add_f32_e32 v27, v42, v27                                // 000000007EB0: 0236372A
	v_add_f32_e32 v27, v43, v27                                // 000000007EB4: 0236372B
	v_add_f32_e32 v27, v44, v27                                // 000000007EB8: 0236372C
	v_add_f32_e32 v27, v45, v27                                // 000000007EBC: 0236372D
	v_add_f32_e32 v27, v46, v27                                // 000000007EC0: 0236372E
	v_add_f32_e32 v27, v47, v27                                // 000000007EC4: 0236372F
	v_add_f32_e32 v27, v48, v27                                // 000000007EC8: 02363730
	v_add_f32_e32 v27, v49, v27                                // 000000007ECC: 02363731
	v_add_f32_e32 v27, v50, v27                                // 000000007ED0: 02363732
	v_add_f32_e32 v27, v51, v27                                // 000000007ED4: 02363733
	v_add_f32_e32 v4, v27, v4                                  // 000000007ED8: 0208091B
	v_cvt_pk_fp8_f32 v36, v36, v37                             // 000000007EDC: D2A20024 00024B24
	v_cvt_pk_fp8_f32 v36, v38, v39 op_sel:[0,0,1]              // 000000007EE4: D2A24024 00024F26
	v_cvt_pk_fp8_f32 v37, v40, v41                             // 000000007EEC: D2A20025 00025328
	v_cvt_pk_fp8_f32 v37, v42, v43 op_sel:[0,0,1]              // 000000007EF4: D2A24025 0002572A
	v_cvt_pk_fp8_f32 v38, v44, v45                             // 000000007EFC: D2A20026 00025B2C
	v_cvt_pk_fp8_f32 v38, v46, v47 op_sel:[0,0,1]              // 000000007F04: D2A24026 00025F2E
	v_cvt_pk_fp8_f32 v39, v48, v49                             // 000000007F0C: D2A20027 00026330
	v_cvt_pk_fp8_f32 v39, v50, v51 op_sel:[0,0,1]              // 000000007F14: D2A24027 00026732
	s_nop 0                                                    // 000000007F1C: BF800000
	v_permlane16_swap_b32_e32 v36, v37                         // 000000007F20: 7E48B325
	v_permlane16_swap_b32_e32 v38, v39                         // 000000007F24: 7E4CB327
	s_nop 0                                                    // 000000007F28: BF800000
	v_permlane32_swap_b32_e32 v36, v38                         // 000000007F2C: 7E48B526
	v_permlane32_swap_b32_e32 v37, v39                         // 000000007F30: 7E4AB527
	ds_write_b128 v32, v[36:39]                                // 000000007F34: D9BE0000 00002420
	s_waitcnt lgkmcnt(0)                                       // 000000007F3C: BF8CC07F
	s_barrier                                                  // 000000007F40: BF8A0000
	ds_read_b128 v[36:39], v33                                 // 000000007F44: D9FE0000 24000021
	ds_read_b128 v[40:43], v33 offset:1024                     // 000000007F4C: D9FE0400 28000021
	s_waitcnt lgkmcnt(0)                                       // 000000007F54: BF8CC07F
	v_permlane16_swap_b32_e32 v36, v40                         // 000000007F58: 7E48B328
	v_permlane16_swap_b32_e32 v37, v41                         // 000000007F5C: 7E4AB329
	v_permlane16_swap_b32_e32 v38, v42                         // 000000007F60: 7E4CB32A
	v_permlane16_swap_b32_e32 v39, v43                         // 000000007F64: 7E4EB32B
	v_permlane32_swap_b32_e32 v36, v40                         // 000000007F68: 7E48B528
	v_permlane32_swap_b32_e32 v37, v41                         // 000000007F6C: 7E4AB529
	v_permlane32_swap_b32_e32 v38, v42                         // 000000007F70: 7E4CB52A
	v_permlane32_swap_b32_e32 v39, v43                         // 000000007F74: 7E4EB52B
	ds_write_b32 v34, v18                                      // 000000007F78: D81A0000 00001222
	s_waitcnt lgkmcnt(0)                                       // 000000007F80: BF8CC07F
	s_barrier                                                  // 000000007F84: BF8A0000
	ds_read_b32 v27, v35                                       // 000000007F88: D86C0000 1B000023
	s_waitcnt lgkmcnt(0)                                       // 000000007F90: BF8CC07F
	v_mul_f32_e32 v56, v27, v56                                // 000000007F94: 0A70711B
	v_mul_f32_e32 v57, v27, v57                                // 000000007F98: 0A72731B
	v_mul_f32_e32 v58, v27, v58                                // 000000007F9C: 0A74751B
	v_mul_f32_e32 v59, v27, v59                                // 000000007FA0: 0A76771B
	v_mul_f32_e32 v60, v27, v60                                // 000000007FA4: 0A78791B
	v_mul_f32_e32 v61, v27, v61                                // 000000007FA8: 0A7A7B1B
	v_mul_f32_e32 v62, v27, v62                                // 000000007FAC: 0A7C7D1B
	v_mul_f32_e32 v63, v27, v63                                // 000000007FB0: 0A7E7F1B
	v_mul_f32_e32 v64, v27, v64                                // 000000007FB4: 0A80811B
	v_mul_f32_e32 v65, v27, v65                                // 000000007FB8: 0A82831B
	v_mul_f32_e32 v66, v27, v66                                // 000000007FBC: 0A84851B
	v_mul_f32_e32 v67, v27, v67                                // 000000007FC0: 0A86871B
	v_mul_f32_e32 v68, v27, v68                                // 000000007FC4: 0A88891B
	v_mul_f32_e32 v69, v27, v69                                // 000000007FC8: 0A8A8B1B
	v_mul_f32_e32 v70, v27, v70                                // 000000007FCC: 0A8C8D1B
	v_mul_f32_e32 v71, v27, v71                                // 000000007FD0: 0A8E8F1B
	v_mul_f32_e32 v72, v27, v72                                // 000000007FD4: 0A90911B
	v_mul_f32_e32 v73, v27, v73                                // 000000007FD8: 0A92931B
	v_mul_f32_e32 v74, v27, v74                                // 000000007FDC: 0A94951B
	v_mul_f32_e32 v75, v27, v75                                // 000000007FE0: 0A96971B
	v_mul_f32_e32 v76, v27, v76                                // 000000007FE4: 0A98991B
	v_mul_f32_e32 v77, v27, v77                                // 000000007FE8: 0A9A9B1B
	v_mul_f32_e32 v78, v27, v78                                // 000000007FEC: 0A9C9D1B
	v_mul_f32_e32 v79, v27, v79                                // 000000007FF0: 0A9E9F1B
	v_mul_f32_e32 v80, v27, v80                                // 000000007FF4: 0AA0A11B
	v_mul_f32_e32 v81, v27, v81                                // 000000007FF8: 0AA2A31B
	v_mul_f32_e32 v82, v27, v82                                // 000000007FFC: 0AA4A51B
	v_mul_f32_e32 v83, v27, v83                                // 000000008000: 0AA6A71B
	v_mul_f32_e32 v84, v27, v84                                // 000000008004: 0AA8A91B
	v_mul_f32_e32 v85, v27, v85                                // 000000008008: 0AAAAB1B
	v_mul_f32_e32 v86, v27, v86                                // 00000000800C: 0AACAD1B
	v_mul_f32_e32 v87, v27, v87                                // 000000008010: 0AAEAF1B
	v_mul_f32_e32 v88, v27, v88                                // 000000008014: 0AB0B11B
	v_mul_f32_e32 v89, v27, v89                                // 000000008018: 0AB2B31B
	v_mul_f32_e32 v90, v27, v90                                // 00000000801C: 0AB4B51B
	v_mul_f32_e32 v91, v27, v91                                // 000000008020: 0AB6B71B
	v_mul_f32_e32 v92, v27, v92                                // 000000008024: 0AB8B91B
	v_mul_f32_e32 v93, v27, v93                                // 000000008028: 0ABABB1B
	v_mul_f32_e32 v94, v27, v94                                // 00000000802C: 0ABCBD1B
	v_mul_f32_e32 v95, v27, v95                                // 000000008030: 0ABEBF1B
	v_mul_f32_e32 v96, v27, v96                                // 000000008034: 0AC0C11B
	v_mul_f32_e32 v97, v27, v97                                // 000000008038: 0AC2C31B
	v_mul_f32_e32 v98, v27, v98                                // 00000000803C: 0AC4C51B
	v_mul_f32_e32 v99, v27, v99                                // 000000008040: 0AC6C71B
	v_mul_f32_e32 v100, v27, v100                              // 000000008044: 0AC8C91B
	v_mul_f32_e32 v101, v27, v101                              // 000000008048: 0ACACB1B
	v_mul_f32_e32 v102, v27, v102                              // 00000000804C: 0ACCCD1B
	v_mul_f32_e32 v103, v27, v103                              // 000000008050: 0ACECF1B
	v_mul_f32_e32 v104, v27, v104                              // 000000008054: 0AD0D11B
	v_mul_f32_e32 v105, v27, v105                              // 000000008058: 0AD2D31B
	v_mul_f32_e32 v106, v27, v106                              // 00000000805C: 0AD4D51B
	v_mul_f32_e32 v107, v27, v107                              // 000000008060: 0AD6D71B
	v_mul_f32_e32 v108, v27, v108                              // 000000008064: 0AD8D91B
	v_mul_f32_e32 v109, v27, v109                              // 000000008068: 0ADADB1B
	v_mul_f32_e32 v110, v27, v110                              // 00000000806C: 0ADCDD1B
	v_mul_f32_e32 v111, v27, v111                              // 000000008070: 0ADEDF1B
	v_mul_f32_e32 v112, v27, v112                              // 000000008074: 0AE0E11B
	v_mul_f32_e32 v113, v27, v113                              // 000000008078: 0AE2E31B
	v_mul_f32_e32 v114, v27, v114                              // 00000000807C: 0AE4E51B
	v_mul_f32_e32 v115, v27, v115                              // 000000008080: 0AE6E71B
	v_mul_f32_e32 v116, v27, v116                              // 000000008084: 0AE8E91B
	v_mul_f32_e32 v117, v27, v117                              // 000000008088: 0AEAEB1B
	v_mul_f32_e32 v118, v27, v118                              // 00000000808C: 0AECED1B
	v_mul_f32_e32 v119, v27, v119                              // 000000008090: 0AEEEF1B
	v_mul_f32_e32 v120, v27, v120                              // 000000008094: 0AF0F11B
	v_mul_f32_e32 v121, v27, v121                              // 000000008098: 0AF2F31B
	v_mul_f32_e32 v122, v27, v122                              // 00000000809C: 0AF4F51B
	v_mul_f32_e32 v123, v27, v123                              // 0000000080A0: 0AF6F71B
	v_mul_f32_e32 v124, v27, v124                              // 0000000080A4: 0AF8F91B
	v_mul_f32_e32 v125, v27, v125                              // 0000000080A8: 0AFAFB1B
	v_mul_f32_e32 v126, v27, v126                              // 0000000080AC: 0AFCFD1B
	v_mul_f32_e32 v127, v27, v127                              // 0000000080B0: 0AFEFF1B
	v_mul_f32_e32 v128, v27, v128                              // 0000000080B4: 0B01011B
	v_mul_f32_e32 v129, v27, v129                              // 0000000080B8: 0B03031B
	v_mul_f32_e32 v130, v27, v130                              // 0000000080BC: 0B05051B
	v_mul_f32_e32 v131, v27, v131                              // 0000000080C0: 0B07071B
	v_mul_f32_e32 v132, v27, v132                              // 0000000080C4: 0B09091B
	v_mul_f32_e32 v133, v27, v133                              // 0000000080C8: 0B0B0B1B
	v_mul_f32_e32 v134, v27, v134                              // 0000000080CC: 0B0D0D1B
	v_mul_f32_e32 v135, v27, v135                              // 0000000080D0: 0B0F0F1B
	v_mul_f32_e32 v136, v27, v136                              // 0000000080D4: 0B11111B
	v_mul_f32_e32 v137, v27, v137                              // 0000000080D8: 0B13131B
	v_mul_f32_e32 v138, v27, v138                              // 0000000080DC: 0B15151B
	v_mul_f32_e32 v139, v27, v139                              // 0000000080E0: 0B17171B
	v_mul_f32_e32 v140, v27, v140                              // 0000000080E4: 0B19191B
	v_mul_f32_e32 v141, v27, v141                              // 0000000080E8: 0B1B1B1B
	v_mul_f32_e32 v142, v27, v142                              // 0000000080EC: 0B1D1D1B
	v_mul_f32_e32 v143, v27, v143                              // 0000000080F0: 0B1F1F1B
	v_mul_f32_e32 v144, v27, v144                              // 0000000080F4: 0B21211B
	v_mul_f32_e32 v145, v27, v145                              // 0000000080F8: 0B23231B
	v_mul_f32_e32 v146, v27, v146                              // 0000000080FC: 0B25251B
	v_mul_f32_e32 v147, v27, v147                              // 000000008100: 0B27271B
	v_mul_f32_e32 v148, v27, v148                              // 000000008104: 0B29291B
	v_mul_f32_e32 v149, v27, v149                              // 000000008108: 0B2B2B1B
	v_mul_f32_e32 v150, v27, v150                              // 00000000810C: 0B2D2D1B
	v_mul_f32_e32 v151, v27, v151                              // 000000008110: 0B2F2F1B
	v_mul_f32_e32 v152, v27, v152                              // 000000008114: 0B31311B
	v_mul_f32_e32 v153, v27, v153                              // 000000008118: 0B33331B
	v_mul_f32_e32 v154, v27, v154                              // 00000000811C: 0B35351B
	v_mul_f32_e32 v155, v27, v155                              // 000000008120: 0B37371B
	v_mul_f32_e32 v156, v27, v156                              // 000000008124: 0B39391B
	v_mul_f32_e32 v157, v27, v157                              // 000000008128: 0B3B3B1B
	v_mul_f32_e32 v158, v27, v158                              // 00000000812C: 0B3D3D1B
	v_mul_f32_e32 v159, v27, v159                              // 000000008130: 0B3F3F1B
	v_mul_f32_e32 v160, v27, v160                              // 000000008134: 0B41411B
	v_mul_f32_e32 v161, v27, v161                              // 000000008138: 0B43431B
	v_mul_f32_e32 v162, v27, v162                              // 00000000813C: 0B45451B
	v_mul_f32_e32 v163, v27, v163                              // 000000008140: 0B47471B
	v_mul_f32_e32 v164, v27, v164                              // 000000008144: 0B49491B
	v_mul_f32_e32 v165, v27, v165                              // 000000008148: 0B4B4B1B
	v_mul_f32_e32 v166, v27, v166                              // 00000000814C: 0B4D4D1B
	v_mul_f32_e32 v167, v27, v167                              // 000000008150: 0B4F4F1B
	v_mul_f32_e32 v168, v27, v168                              // 000000008154: 0B51511B
	v_mul_f32_e32 v169, v27, v169                              // 000000008158: 0B53531B
	v_mul_f32_e32 v170, v27, v170                              // 00000000815C: 0B55551B
	v_mul_f32_e32 v171, v27, v171                              // 000000008160: 0B57571B
	v_mul_f32_e32 v172, v27, v172                              // 000000008164: 0B59591B
	v_mul_f32_e32 v173, v27, v173                              // 000000008168: 0B5B5B1B
	v_mul_f32_e32 v174, v27, v174                              // 00000000816C: 0B5D5D1B
	v_mul_f32_e32 v175, v27, v175                              // 000000008170: 0B5F5F1B
	v_mul_f32_e32 v176, v27, v176                              // 000000008174: 0B61611B
	v_mul_f32_e32 v177, v27, v177                              // 000000008178: 0B63631B
	v_mul_f32_e32 v178, v27, v178                              // 00000000817C: 0B65651B
	v_mul_f32_e32 v179, v27, v179                              // 000000008180: 0B67671B
	v_mul_f32_e32 v180, v27, v180                              // 000000008184: 0B69691B
	v_mul_f32_e32 v181, v27, v181                              // 000000008188: 0B6B6B1B
	v_mul_f32_e32 v182, v27, v182                              // 00000000818C: 0B6D6D1B
	v_mul_f32_e32 v183, v27, v183                              // 000000008190: 0B6F6F1B
	v_mfma_f32_32x32x64_f8f6f4 v[56:71], a[120:127], v[36:43], v[56:71]// 000000008194: D3AE0038 0CE24978
	v_mfma_f32_32x32x64_f8f6f4 v[72:87], a[128:135], v[36:43], v[72:87]// 00000000819C: D3AE0048 0D224980
	v_mfma_f32_32x32x64_f8f6f4 v[88:103], a[136:143], v[36:43], v[88:103]// 0000000081A4: D3AE0058 0D624988
	v_mfma_f32_32x32x64_f8f6f4 v[104:119], a[144:151], v[36:43], v[104:119]// 0000000081AC: D3AE0068 0DA24990
	v_mfma_f32_32x32x64_f8f6f4 v[120:135], a[152:159], v[36:43], v[120:135]// 0000000081B4: D3AE0078 0DE24998
	v_mfma_f32_32x32x64_f8f6f4 v[136:151], a[160:167], v[36:43], v[136:151]// 0000000081BC: D3AE0088 0E2249A0
	v_mfma_f32_32x32x64_f8f6f4 v[152:167], a[168:175], v[36:43], v[152:167]// 0000000081C4: D3AE0098 0E6249A8
	v_mfma_f32_32x32x64_f8f6f4 v[168:183], a[176:183], v[36:43], v[168:183]// 0000000081CC: D3AE00A8 0EA249B0
	s_waitcnt lgkmcnt(0)                                       // 0000000081D4: BF8CC07F
	s_nop 8                                                    // 0000000081D8: BF800008
	s_branch label_6A40                                        // 0000000081DC: BF820296

00000000000081e0 <label_5DE0>:
	s_waitcnt lgkmcnt(4)                                       // 0000000081E0: BF8CC47F
	v_mfma_f32_16x16x128_f8f6f4 v[36:39], a[40:47], a[0:7], 0  // 0000000081E4: D3AD0024 1A020128
	ds_read_b128 a[40:43], v22 offset:18432                    // 0000000081EC: DBFE4800 28000016
	v_mfma_f32_16x16x128_f8f6f4 v[36:39], a[48:55], a[8:15], v[36:39]// 0000000081F4: D3AD0024 1C921130
	ds_read_b128 a[44:47], v22 offset:19456                    // 0000000081FC: DBFE4C00 2C000016
	v_mfma_f32_16x16x128_f8f6f4 v[36:39], a[56:63], a[16:23], v[36:39]// 000000008204: D3AD0024 1C922138
	ds_read_b128 a[48:51], v22 offset:20480                    // 00000000820C: DBFE5000 30000016
	v_mfma_f32_16x16x128_f8f6f4 v[36:39], a[64:71], a[24:31], v[36:39]// 000000008214: D3AD0024 1C923140
	ds_read_b128 a[52:55], v22 offset:21504                    // 00000000821C: DBFE5400 34000016
	v_mfma_f32_16x16x128_f8f6f4 v[36:39], a[72:79], a[32:39], v[36:39]// 000000008224: D3AD0024 1C924148
	ds_read_b128 a[56:59], v22 offset:22528                    // 00000000822C: DBFE5800 38000016
	v_mfma_f32_16x16x128_f8f6f4 v[40:43], a[80:87], a[0:7], 0  // 000000008234: D3AD0028 1A020150
	ds_read_b128 a[60:63], v22 offset:23552                    // 00000000823C: DBFE5C00 3C000016
	v_mfma_f32_16x16x128_f8f6f4 v[40:43], a[88:95], a[8:15], v[40:43]// 000000008244: D3AD0028 1CA21158
	ds_read_b128 a[64:67], v22 offset:24576                    // 00000000824C: DBFE6000 40000016
	v_mfma_f32_16x16x128_f8f6f4 v[40:43], a[96:103], a[16:23], v[40:43]// 000000008254: D3AD0028 1CA22160
	ds_read_b128 a[68:71], v22 offset:25600                    // 00000000825C: DBFE6400 44000016
	v_mfma_f32_16x16x128_f8f6f4 v[40:43], a[104:111], a[24:31], v[40:43]// 000000008264: D3AD0028 1CA23168
	ds_read_b128 a[72:75], v22 offset:26624                    // 00000000826C: DBFE6800 48000016
	v_mfma_f32_16x16x128_f8f6f4 v[40:43], a[112:119], a[32:39], v[40:43]// 000000008274: D3AD0028 1CA24170
	ds_read_b128 a[80:83], v22 offset:27648                    // 00000000827C: DBFE6C00 50000016
	ds_read_b128 a[84:87], v22 offset:28672                    // 000000008284: DBFE7000 54000016
	ds_read_b128 a[88:91], v22 offset:29696                    // 00000000828C: DBFE7400 58000016
	ds_read_b128 a[92:95], v22 offset:30720                    // 000000008294: DBFE7800 5C000016
	ds_read_b128 a[96:99], v22 offset:31744                    // 00000000829C: DBFE7C00 60000016
	ds_read_b128 a[100:103], v22 offset:32768                  // 0000000082A4: DBFE8000 64000016
	ds_read_b128 a[104:107], v22 offset:33792                  // 0000000082AC: DBFE8400 68000016
	ds_read_b128 a[108:111], v22 offset:34816                  // 0000000082B4: DBFE8800 6C000016
	ds_read_b128 a[112:115], v22 offset:35840                  // 0000000082BC: DBFE8C00 70000016
	s_waitcnt lgkmcnt(0)                                       // 0000000082C4: BF8CC07F
	v_mfma_f32_16x16x128_f8f6f4 v[44:47], a[40:47], a[0:7], 0  // 0000000082C8: D3AD002C 1A020128
	ds_read_b64_tr_b8 a[120:121], v14                          // 0000000082D0: DBC40000 7800000E
	ds_read_b64_tr_b8 a[122:123], v15                          // 0000000082D8: DBC40000 7A00000F
	ds_read_b64_tr_b8 a[124:125], v14 offset:18432             // 0000000082E0: DBC44800 7C00000E
	ds_read_b64_tr_b8 a[126:127], v15 offset:18432             // 0000000082E8: DBC44800 7E00000F
	v_mfma_f32_16x16x128_f8f6f4 v[44:47], a[48:55], a[8:15], v[44:47]// 0000000082F0: D3AD002C 1CB21130
	ds_read_b64_tr_b8 a[128:129], v16                          // 0000000082F8: DBC40000 80000010
	ds_read_b64_tr_b8 a[130:131], v17                          // 000000008300: DBC40000 82000011
	ds_read_b64_tr_b8 a[132:133], v16 offset:18432             // 000000008308: DBC44800 84000010
	ds_read_b64_tr_b8 a[134:135], v17 offset:18432             // 000000008310: DBC44800 86000011
	v_mfma_f32_16x16x128_f8f6f4 v[44:47], a[56:63], a[16:23], v[44:47]// 000000008318: D3AD002C 1CB22138
	ds_read_b64_tr_b8 a[136:137], v14 offset:1024              // 000000008320: DBC40400 8800000E
	ds_read_b64_tr_b8 a[138:139], v15 offset:1024              // 000000008328: DBC40400 8A00000F
	ds_read_b64_tr_b8 a[140:141], v14 offset:19456             // 000000008330: DBC44C00 8C00000E
	ds_read_b64_tr_b8 a[142:143], v15 offset:19456             // 000000008338: DBC44C00 8E00000F
	v_mfma_f32_16x16x128_f8f6f4 v[44:47], a[64:71], a[24:31], v[44:47]// 000000008340: D3AD002C 1CB23140
	ds_read_b64_tr_b8 a[144:145], v16 offset:1024              // 000000008348: DBC40400 90000010
	ds_read_b64_tr_b8 a[146:147], v17 offset:1024              // 000000008350: DBC40400 92000011
	ds_read_b64_tr_b8 a[148:149], v16 offset:19456             // 000000008358: DBC44C00 94000010
	ds_read_b64_tr_b8 a[150:151], v17 offset:19456             // 000000008360: DBC44C00 96000011
	v_mfma_f32_16x16x128_f8f6f4 v[44:47], a[72:79], a[32:39], v[44:47]// 000000008368: D3AD002C 1CB24148
	ds_read_b64_tr_b8 a[152:153], v14 offset:2048              // 000000008370: DBC40800 9800000E
	ds_read_b64_tr_b8 a[154:155], v15 offset:2048              // 000000008378: DBC40800 9A00000F
	ds_read_b64_tr_b8 a[156:157], v14 offset:20480             // 000000008380: DBC45000 9C00000E
	ds_read_b64_tr_b8 a[158:159], v15 offset:20480             // 000000008388: DBC45000 9E00000F
	v_mfma_f32_16x16x128_f8f6f4 v[48:51], a[80:87], a[0:7], 0  // 000000008390: D3AD0030 1A020150
	ds_read_b64_tr_b8 a[160:161], v16 offset:2048              // 000000008398: DBC40800 A0000010
	ds_read_b64_tr_b8 a[162:163], v17 offset:2048              // 0000000083A0: DBC40800 A2000011
	ds_read_b64_tr_b8 a[164:165], v16 offset:20480             // 0000000083A8: DBC45000 A4000010
	ds_read_b64_tr_b8 a[166:167], v17 offset:20480             // 0000000083B0: DBC45000 A6000011
	v_mfma_f32_16x16x128_f8f6f4 v[48:51], a[88:95], a[8:15], v[48:51]// 0000000083B8: D3AD0030 1CC21158
	ds_read_b64_tr_b8 a[168:169], v14 offset:3072              // 0000000083C0: DBC40C00 A800000E
	ds_read_b64_tr_b8 a[170:171], v15 offset:3072              // 0000000083C8: DBC40C00 AA00000F
	ds_read_b64_tr_b8 a[172:173], v14 offset:21504             // 0000000083D0: DBC45400 AC00000E
	ds_read_b64_tr_b8 a[174:175], v15 offset:21504             // 0000000083D8: DBC45400 AE00000F
	v_mfma_f32_16x16x128_f8f6f4 v[48:51], a[96:103], a[16:23], v[48:51]// 0000000083E0: D3AD0030 1CC22160
	ds_read_b64_tr_b8 a[176:177], v16 offset:3072              // 0000000083E8: DBC40C00 B0000010
	ds_read_b64_tr_b8 a[178:179], v17 offset:3072              // 0000000083F0: DBC40C00 B2000011
	ds_read_b64_tr_b8 a[180:181], v16 offset:21504             // 0000000083F8: DBC45400 B4000010
	ds_read_b64_tr_b8 a[182:183], v17 offset:21504             // 000000008400: DBC45400 B6000011
	v_mfma_f32_16x16x128_f8f6f4 v[48:51], a[104:111], a[24:31], v[48:51]// 000000008408: D3AD0030 1CC23168
	v_mfma_f32_16x16x128_f8f6f4 v[48:51], a[112:119], a[32:39], v[48:51]// 000000008410: D3AD0030 1CC24170
	s_nop 8                                                    // 000000008418: BF800008
	s_and_b32 s56, s48, 0xff                                   // 00000000841C: 8638FF30 000000FF
	v_mov_b32_e32 v28, s56                                     // 000000008424: 7E380238
	v_lshrrev_b32_e32 v187, 4, v0                              // 000000008428: 21760084
	v_mul_i32_i24_e32 v187, 4, v187                            // 00000000842C: 0D777684
	v_add_u32_e32 v188, 1, v187                                // 000000008430: 69797681
	v_add_u32_e32 v189, 2, v187                                // 000000008434: 697B7682
	v_add_u32_e32 v190, 3, v187                                // 000000008438: 697D7683
	v_mov_b32_e32 v27, 0xff800000                              // 00000000843C: 7E3602FF FF800000
	v_cmp_lt_u32_e64 s[36:37], v187, v28                       // 000000008444: D0C90024 000239BB
	v_add_u32_e32 v187, 16, v187                               // 00000000844C: 69777690
	s_nop 0                                                    // 000000008450: BF800000
	v_cndmask_b32_e64 v36, v27, v36, s[36:37]                  // 000000008454: D1000024 0092491B
	v_cmp_lt_u32_e64 s[36:37], v188, v28                       // 00000000845C: D0C90024 000239BC
	v_add_u32_e32 v188, 16, v188                               // 000000008464: 69797890
	s_nop 0                                                    // 000000008468: BF800000
	v_cndmask_b32_e64 v37, v27, v37, s[36:37]                  // 00000000846C: D1000025 00924B1B
	v_cmp_lt_u32_e64 s[36:37], v189, v28                       // 000000008474: D0C90024 000239BD
	v_add_u32_e32 v189, 16, v189                               // 00000000847C: 697B7A90
	s_nop 0                                                    // 000000008480: BF800000
	v_cndmask_b32_e64 v38, v27, v38, s[36:37]                  // 000000008484: D1000026 00924D1B
	v_cmp_lt_u32_e64 s[36:37], v190, v28                       // 00000000848C: D0C90024 000239BE
	v_add_u32_e32 v190, 16, v190                               // 000000008494: 697D7C90
	s_nop 0                                                    // 000000008498: BF800000
	v_cndmask_b32_e64 v39, v27, v39, s[36:37]                  // 00000000849C: D1000027 00924F1B
	v_cmp_lt_u32_e64 s[36:37], v187, v28                       // 0000000084A4: D0C90024 000239BB
	v_add_u32_e32 v187, 16, v187                               // 0000000084AC: 69777690
	s_nop 0                                                    // 0000000084B0: BF800000
	v_cndmask_b32_e64 v40, v27, v40, s[36:37]                  // 0000000084B4: D1000028 0092511B
	v_cmp_lt_u32_e64 s[36:37], v188, v28                       // 0000000084BC: D0C90024 000239BC
	v_add_u32_e32 v188, 16, v188                               // 0000000084C4: 69797890
	s_nop 0                                                    // 0000000084C8: BF800000
	v_cndmask_b32_e64 v41, v27, v41, s[36:37]                  // 0000000084CC: D1000029 0092531B
	v_cmp_lt_u32_e64 s[36:37], v189, v28                       // 0000000084D4: D0C90024 000239BD
	v_add_u32_e32 v189, 16, v189                               // 0000000084DC: 697B7A90
	s_nop 0                                                    // 0000000084E0: BF800000
	v_cndmask_b32_e64 v42, v27, v42, s[36:37]                  // 0000000084E4: D100002A 0092551B
	v_cmp_lt_u32_e64 s[36:37], v190, v28                       // 0000000084EC: D0C90024 000239BE
	v_add_u32_e32 v190, 16, v190                               // 0000000084F4: 697D7C90
	s_nop 0                                                    // 0000000084F8: BF800000
	v_cndmask_b32_e64 v43, v27, v43, s[36:37]                  // 0000000084FC: D100002B 0092571B
	v_cmp_lt_u32_e64 s[36:37], v187, v28                       // 000000008504: D0C90024 000239BB
	v_add_u32_e32 v187, 16, v187                               // 00000000850C: 69777690
	s_nop 0                                                    // 000000008510: BF800000
	v_cndmask_b32_e64 v44, v27, v44, s[36:37]                  // 000000008514: D100002C 0092591B
	v_cmp_lt_u32_e64 s[36:37], v188, v28                       // 00000000851C: D0C90024 000239BC
	v_add_u32_e32 v188, 16, v188                               // 000000008524: 69797890
	s_nop 0                                                    // 000000008528: BF800000
	v_cndmask_b32_e64 v45, v27, v45, s[36:37]                  // 00000000852C: D100002D 00925B1B
	v_cmp_lt_u32_e64 s[36:37], v189, v28                       // 000000008534: D0C90024 000239BD
	v_add_u32_e32 v189, 16, v189                               // 00000000853C: 697B7A90
	s_nop 0                                                    // 000000008540: BF800000
	v_cndmask_b32_e64 v46, v27, v46, s[36:37]                  // 000000008544: D100002E 00925D1B
	v_cmp_lt_u32_e64 s[36:37], v190, v28                       // 00000000854C: D0C90024 000239BE
	v_add_u32_e32 v190, 16, v190                               // 000000008554: 697D7C90
	s_nop 0                                                    // 000000008558: BF800000
	v_cndmask_b32_e64 v47, v27, v47, s[36:37]                  // 00000000855C: D100002F 00925F1B
	v_cmp_lt_u32_e64 s[36:37], v187, v28                       // 000000008564: D0C90024 000239BB
	v_add_u32_e32 v187, 16, v187                               // 00000000856C: 69777690
	s_nop 0                                                    // 000000008570: BF800000
	v_cndmask_b32_e64 v48, v27, v48, s[36:37]                  // 000000008574: D1000030 0092611B
	v_cmp_lt_u32_e64 s[36:37], v188, v28                       // 00000000857C: D0C90024 000239BC
	v_add_u32_e32 v188, 16, v188                               // 000000008584: 69797890
	s_nop 0                                                    // 000000008588: BF800000
	v_cndmask_b32_e64 v49, v27, v49, s[36:37]                  // 00000000858C: D1000031 0092631B
	v_cmp_lt_u32_e64 s[36:37], v189, v28                       // 000000008594: D0C90024 000239BD
	v_add_u32_e32 v189, 16, v189                               // 00000000859C: 697B7A90
	s_nop 0                                                    // 0000000085A0: BF800000
	v_cndmask_b32_e64 v50, v27, v50, s[36:37]                  // 0000000085A4: D1000032 0092651B
	v_cmp_lt_u32_e64 s[36:37], v190, v28                       // 0000000085AC: D0C90024 000239BE
	v_add_u32_e32 v190, 16, v190                               // 0000000085B4: 697D7C90
	s_nop 0                                                    // 0000000085B8: BF800000
	v_cndmask_b32_e64 v51, v27, v51, s[36:37]                  // 0000000085BC: D1000033 0092671B
	s_cmp_le_i32 s83, s82                                      // 0000000085C4: BF055253
	s_cbranch_scc1 label_637C                                  // 0000000085C8: BF85006C
	v_mov_b32_e32 v27, s82                                     // 0000000085CC: 7E360252
	v_add_i32 v27, s7, v27                                     // 0000000085D0: D29C001B 00023607
	s_sub_u32 s56, s83, 63                                     // 0000000085D8: 80B8BF53
	v_lshrrev_b32_e32 v187, 4, v0                              // 0000000085DC: 21760084
	v_mul_i32_i24_e32 v187, 4, v187                            // 0000000085E0: 0D777684
	v_add_u32_e32 v187, s56, v187                              // 0000000085E4: 69777638
	v_add_u32_e32 v188, 1, v187                                // 0000000085E8: 69797681
	v_add_u32_e32 v189, 2, v187                                // 0000000085EC: 697B7682
	v_add_u32_e32 v190, 3, v187                                // 0000000085F0: 697D7683
	v_mov_b32_e32 v28, 0xff800000                              // 0000000085F4: 7E3802FF FF800000
	v_cmp_le_i32_e64 s[36:37], v187, v27                       // 0000000085FC: D0C30024 000237BB
	v_add_u32_e32 v187, 16, v187                               // 000000008604: 69777690
	s_nop 0                                                    // 000000008608: BF800000
	v_cndmask_b32_e64 v36, v28, v36, s[36:37]                  // 00000000860C: D1000024 0092491C
	v_cmp_le_i32_e64 s[36:37], v188, v27                       // 000000008614: D0C30024 000237BC
	v_add_u32_e32 v188, 16, v188                               // 00000000861C: 69797890
	s_nop 0                                                    // 000000008620: BF800000
	v_cndmask_b32_e64 v37, v28, v37, s[36:37]                  // 000000008624: D1000025 00924B1C
	v_cmp_le_i32_e64 s[36:37], v189, v27                       // 00000000862C: D0C30024 000237BD
	v_add_u32_e32 v189, 16, v189                               // 000000008634: 697B7A90
	s_nop 0                                                    // 000000008638: BF800000
	v_cndmask_b32_e64 v38, v28, v38, s[36:37]                  // 00000000863C: D1000026 00924D1C
	v_cmp_le_i32_e64 s[36:37], v190, v27                       // 000000008644: D0C30024 000237BE
	v_add_u32_e32 v190, 16, v190                               // 00000000864C: 697D7C90
	s_nop 0                                                    // 000000008650: BF800000
	v_cndmask_b32_e64 v39, v28, v39, s[36:37]                  // 000000008654: D1000027 00924F1C
	v_cmp_le_i32_e64 s[36:37], v187, v27                       // 00000000865C: D0C30024 000237BB
	v_add_u32_e32 v187, 16, v187                               // 000000008664: 69777690
	s_nop 0                                                    // 000000008668: BF800000
	v_cndmask_b32_e64 v40, v28, v40, s[36:37]                  // 00000000866C: D1000028 0092511C
	v_cmp_le_i32_e64 s[36:37], v188, v27                       // 000000008674: D0C30024 000237BC
	v_add_u32_e32 v188, 16, v188                               // 00000000867C: 69797890
	s_nop 0                                                    // 000000008680: BF800000
	v_cndmask_b32_e64 v41, v28, v41, s[36:37]                  // 000000008684: D1000029 0092531C
	v_cmp_le_i32_e64 s[36:37], v189, v27                       // 00000000868C: D0C30024 000237BD
	v_add_u32_e32 v189, 16, v189                               // 000000008694: 697B7A90
	s_nop 0                                                    // 000000008698: BF800000
	v_cndmask_b32_e64 v42, v28, v42, s[36:37]                  // 00000000869C: D100002A 0092551C
	v_cmp_le_i32_e64 s[36:37], v190, v27                       // 0000000086A4: D0C30024 000237BE
	v_add_u32_e32 v190, 16, v190                               // 0000000086AC: 697D7C90
	s_nop 0                                                    // 0000000086B0: BF800000
	v_cndmask_b32_e64 v43, v28, v43, s[36:37]                  // 0000000086B4: D100002B 0092571C
	v_cmp_le_i32_e64 s[36:37], v187, v27                       // 0000000086BC: D0C30024 000237BB
	v_add_u32_e32 v187, 16, v187                               // 0000000086C4: 69777690
	s_nop 0                                                    // 0000000086C8: BF800000
	v_cndmask_b32_e64 v44, v28, v44, s[36:37]                  // 0000000086CC: D100002C 0092591C
	v_cmp_le_i32_e64 s[36:37], v188, v27                       // 0000000086D4: D0C30024 000237BC
	v_add_u32_e32 v188, 16, v188                               // 0000000086DC: 69797890
	s_nop 0                                                    // 0000000086E0: BF800000
	v_cndmask_b32_e64 v45, v28, v45, s[36:37]                  // 0000000086E4: D100002D 00925B1C
	v_cmp_le_i32_e64 s[36:37], v189, v27                       // 0000000086EC: D0C30024 000237BD
	v_add_u32_e32 v189, 16, v189                               // 0000000086F4: 697B7A90
	s_nop 0                                                    // 0000000086F8: BF800000
	v_cndmask_b32_e64 v46, v28, v46, s[36:37]                  // 0000000086FC: D100002E 00925D1C
	v_cmp_le_i32_e64 s[36:37], v190, v27                       // 000000008704: D0C30024 000237BE
	v_add_u32_e32 v190, 16, v190                               // 00000000870C: 697D7C90
	s_nop 0                                                    // 000000008710: BF800000
	v_cndmask_b32_e64 v47, v28, v47, s[36:37]                  // 000000008714: D100002F 00925F1C
	v_cmp_le_i32_e64 s[36:37], v187, v27                       // 00000000871C: D0C30024 000237BB
	v_add_u32_e32 v187, 16, v187                               // 000000008724: 69777690
	s_nop 0                                                    // 000000008728: BF800000
	v_cndmask_b32_e64 v48, v28, v48, s[36:37]                  // 00000000872C: D1000030 0092611C
	v_cmp_le_i32_e64 s[36:37], v188, v27                       // 000000008734: D0C30024 000237BC
	v_add_u32_e32 v188, 16, v188                               // 00000000873C: 69797890
	s_nop 0                                                    // 000000008740: BF800000
	v_cndmask_b32_e64 v49, v28, v49, s[36:37]                  // 000000008744: D1000031 0092631C
	v_cmp_le_i32_e64 s[36:37], v189, v27                       // 00000000874C: D0C30024 000237BD
	v_add_u32_e32 v189, 16, v189                               // 000000008754: 697B7A90
	s_nop 0                                                    // 000000008758: BF800000
	v_cndmask_b32_e64 v50, v28, v50, s[36:37]                  // 00000000875C: D1000032 0092651C
	v_cmp_le_i32_e64 s[36:37], v190, v27                       // 000000008764: D0C30024 000237BE
	v_add_u32_e32 v190, 16, v190                               // 00000000876C: 697D7C90
	s_nop 0                                                    // 000000008770: BF800000
	v_cndmask_b32_e64 v51, v28, v51, s[36:37]                  // 000000008774: D1000033 0092671C

000000000000877c <label_637C>:
	s_add_u32 s83, s84, s83                                    // 00000000877C: 80535354
	s_nop 2                                                    // 000000008780: BF800002
	v_mov_b32_e32 v28, v36                                     // 000000008784: 7E380324
	v_max3_f32 v28, v36, v37, v28                              // 000000008788: D1D3001C 04724B24
	v_max3_f32 v28, v38, v39, v28                              // 000000008790: D1D3001C 04724F26
	v_max3_f32 v28, v40, v41, v28                              // 000000008798: D1D3001C 04725328
	v_max3_f32 v28, v42, v43, v28                              // 0000000087A0: D1D3001C 0472572A
	v_max3_f32 v28, v44, v45, v28                              // 0000000087A8: D1D3001C 04725B2C
	v_max3_f32 v28, v46, v47, v28                              // 0000000087B0: D1D3001C 04725F2E
	v_max3_f32 v28, v48, v49, v28                              // 0000000087B8: D1D3001C 04726330
	v_max3_f32 v28, v50, v51, v28                              // 0000000087C0: D1D3001C 04726732
	v_mov_b32_e32 v27, v28                                     // 0000000087C8: 7E36031C
	v_mov_b32_e32 v28, v28                                     // 0000000087CC: 7E38031C
	s_nop 1                                                    // 0000000087D0: BF800001
	v_permlane16_swap_b32_e32 v27, v28                         // 0000000087D4: 7E36B31C
	v_mov_b32_e32 v30, v27                                     // 0000000087D8: 7E3C031B
	v_mov_b32_e32 v29, v28                                     // 0000000087DC: 7E3A031C
	s_nop 1                                                    // 0000000087E0: BF800001
	v_permlane32_swap_b32_e32 v27, v28                         // 0000000087E4: 7E36B51C
	v_permlane32_swap_b32_e32 v29, v30                         // 0000000087E8: 7E3AB51E
	v_max3_f32 v28, v27, v28, v28                              // 0000000087EC: D1D3001C 0472391B
	v_max3_f32 v28, v29, v30, v28                              // 0000000087F4: D1D3001C 04723D1D
	v_mov_b32_e32 v27, 0xff800000                              // 0000000087FC: 7E3602FF FF800000
	v_cmp_eq_u32_e64 s[36:37], v27, v2                         // 000000008804: D0CA0024 0002051B
	v_max_f32_e32 v28, v28, v2                                 // 00000000880C: 1638051C
	v_sub_f32_e32 v18, v2, v28                                 // 000000008810: 04243902
	v_cndmask_b32_e64 v18, v18, 0, s[36:37]                    // 000000008814: D1000012 00910112
	v_mov_b32_e32 v2, v28                                      // 00000000881C: 7E04031C
	v_mul_f32_e32 v28, s5, v28                                 // 000000008820: 0A383805
	v_mul_f32_e32 v18, s5, v18                                 // 000000008824: 0A242405
	v_exp_f32_e32 v18, v18                                     // 000000008828: 7E244112
	v_fma_f32 v36, v36, s5, -v28                               // 00000000882C: D1CB0024 84700B24
	v_fma_f32 v37, v37, s5, -v28                               // 000000008834: D1CB0025 84700B25
	v_fma_f32 v38, v38, s5, -v28                               // 00000000883C: D1CB0026 84700B26
	v_fma_f32 v39, v39, s5, -v28                               // 000000008844: D1CB0027 84700B27
	v_fma_f32 v40, v40, s5, -v28                               // 00000000884C: D1CB0028 84700B28
	v_fma_f32 v41, v41, s5, -v28                               // 000000008854: D1CB0029 84700B29
	v_fma_f32 v42, v42, s5, -v28                               // 00000000885C: D1CB002A 84700B2A
	v_fma_f32 v43, v43, s5, -v28                               // 000000008864: D1CB002B 84700B2B
	v_fma_f32 v44, v44, s5, -v28                               // 00000000886C: D1CB002C 84700B2C
	v_fma_f32 v45, v45, s5, -v28                               // 000000008874: D1CB002D 84700B2D
	v_fma_f32 v46, v46, s5, -v28                               // 00000000887C: D1CB002E 84700B2E
	v_fma_f32 v47, v47, s5, -v28                               // 000000008884: D1CB002F 84700B2F
	v_fma_f32 v48, v48, s5, -v28                               // 00000000888C: D1CB0030 84700B30
	v_fma_f32 v49, v49, s5, -v28                               // 000000008894: D1CB0031 84700B31
	v_fma_f32 v50, v50, s5, -v28                               // 00000000889C: D1CB0032 84700B32
	v_fma_f32 v51, v51, s5, -v28                               // 0000000088A4: D1CB0033 84700B33
	v_exp_f32_e32 v36, v36                                     // 0000000088AC: 7E484124
	v_exp_f32_e32 v37, v37                                     // 0000000088B0: 7E4A4125
	v_exp_f32_e32 v38, v38                                     // 0000000088B4: 7E4C4126
	v_exp_f32_e32 v39, v39                                     // 0000000088B8: 7E4E4127
	v_exp_f32_e32 v40, v40                                     // 0000000088BC: 7E504128
	v_exp_f32_e32 v41, v41                                     // 0000000088C0: 7E524129
	v_exp_f32_e32 v42, v42                                     // 0000000088C4: 7E54412A
	v_exp_f32_e32 v43, v43                                     // 0000000088C8: 7E56412B
	v_exp_f32_e32 v44, v44                                     // 0000000088CC: 7E58412C
	v_exp_f32_e32 v45, v45                                     // 0000000088D0: 7E5A412D
	v_exp_f32_e32 v46, v46                                     // 0000000088D4: 7E5C412E
	v_exp_f32_e32 v47, v47                                     // 0000000088D8: 7E5E412F
	v_exp_f32_e32 v48, v48                                     // 0000000088DC: 7E604130
	v_exp_f32_e32 v49, v49                                     // 0000000088E0: 7E624131
	v_exp_f32_e32 v50, v50                                     // 0000000088E4: 7E644132
	v_exp_f32_e32 v51, v51                                     // 0000000088E8: 7E664133
	v_mul_f32_e32 v4, v18, v4                                  // 0000000088EC: 0A080912
	v_mov_b32_e32 v27, v36                                     // 0000000088F0: 7E360324
	v_add_f32_e32 v27, v37, v27                                // 0000000088F4: 02363725
	v_add_f32_e32 v27, v38, v27                                // 0000000088F8: 02363726
	v_add_f32_e32 v27, v39, v27                                // 0000000088FC: 02363727
	v_add_f32_e32 v27, v40, v27                                // 000000008900: 02363728
	v_add_f32_e32 v27, v41, v27                                // 000000008904: 02363729
	v_add_f32_e32 v27, v42, v27                                // 000000008908: 0236372A
	v_add_f32_e32 v27, v43, v27                                // 00000000890C: 0236372B
	v_add_f32_e32 v27, v44, v27                                // 000000008910: 0236372C
	v_add_f32_e32 v27, v45, v27                                // 000000008914: 0236372D
	v_add_f32_e32 v27, v46, v27                                // 000000008918: 0236372E
	v_add_f32_e32 v27, v47, v27                                // 00000000891C: 0236372F
	v_add_f32_e32 v27, v48, v27                                // 000000008920: 02363730
	v_add_f32_e32 v27, v49, v27                                // 000000008924: 02363731
	;; [unrolled: 1-line block ×3, first 2 shown]
	v_add_f32_e32 v27, v51, v27                                // 00000000892C: 02363733
	v_add_f32_e32 v4, v27, v4                                  // 000000008930: 0208091B
	v_cvt_pk_fp8_f32 v36, v36, v37                             // 000000008934: D2A20024 00024B24
	v_cvt_pk_fp8_f32 v36, v38, v39 op_sel:[0,0,1]              // 00000000893C: D2A24024 00024F26
	v_cvt_pk_fp8_f32 v37, v40, v41                             // 000000008944: D2A20025 00025328
	v_cvt_pk_fp8_f32 v37, v42, v43 op_sel:[0,0,1]              // 00000000894C: D2A24025 0002572A
	v_cvt_pk_fp8_f32 v38, v44, v45                             // 000000008954: D2A20026 00025B2C
	v_cvt_pk_fp8_f32 v38, v46, v47 op_sel:[0,0,1]              // 00000000895C: D2A24026 00025F2E
	v_cvt_pk_fp8_f32 v39, v48, v49                             // 000000008964: D2A20027 00026330
	v_cvt_pk_fp8_f32 v39, v50, v51 op_sel:[0,0,1]              // 00000000896C: D2A24027 00026732
	s_nop 0                                                    // 000000008974: BF800000
	v_permlane16_swap_b32_e32 v36, v37                         // 000000008978: 7E48B325
	v_permlane16_swap_b32_e32 v38, v39                         // 00000000897C: 7E4CB327
	s_nop 0                                                    // 000000008980: BF800000
	v_permlane32_swap_b32_e32 v36, v38                         // 000000008984: 7E48B526
	v_permlane32_swap_b32_e32 v37, v39                         // 000000008988: 7E4AB527
	ds_write_b128 v32, v[36:39]                                // 00000000898C: D9BE0000 00002420
	s_waitcnt lgkmcnt(0)                                       // 000000008994: BF8CC07F
	s_barrier                                                  // 000000008998: BF8A0000
	ds_read_b128 v[36:39], v33                                 // 00000000899C: D9FE0000 24000021
	ds_read_b128 v[40:43], v33 offset:1024                     // 0000000089A4: D9FE0400 28000021
	s_waitcnt lgkmcnt(0)                                       // 0000000089AC: BF8CC07F
	v_permlane16_swap_b32_e32 v36, v40                         // 0000000089B0: 7E48B328
	v_permlane16_swap_b32_e32 v37, v41                         // 0000000089B4: 7E4AB329
	v_permlane16_swap_b32_e32 v38, v42                         // 0000000089B8: 7E4CB32A
	v_permlane16_swap_b32_e32 v39, v43                         // 0000000089BC: 7E4EB32B
	v_permlane32_swap_b32_e32 v36, v40                         // 0000000089C0: 7E48B528
	v_permlane32_swap_b32_e32 v37, v41                         // 0000000089C4: 7E4AB529
	v_permlane32_swap_b32_e32 v38, v42                         // 0000000089C8: 7E4CB52A
	v_permlane32_swap_b32_e32 v39, v43                         // 0000000089CC: 7E4EB52B
	ds_write_b32 v34, v18                                      // 0000000089D0: D81A0000 00001222
	s_waitcnt lgkmcnt(0)                                       // 0000000089D8: BF8CC07F
	s_barrier                                                  // 0000000089DC: BF8A0000
	ds_read_b32 v27, v35                                       // 0000000089E0: D86C0000 1B000023
	s_waitcnt lgkmcnt(0)                                       // 0000000089E8: BF8CC07F
	v_mul_f32_e32 v56, v27, v56                                // 0000000089EC: 0A70711B
	v_mul_f32_e32 v57, v27, v57                                // 0000000089F0: 0A72731B
	v_mul_f32_e32 v58, v27, v58                                // 0000000089F4: 0A74751B
	v_mul_f32_e32 v59, v27, v59                                // 0000000089F8: 0A76771B
	v_mul_f32_e32 v60, v27, v60                                // 0000000089FC: 0A78791B
	v_mul_f32_e32 v61, v27, v61                                // 000000008A00: 0A7A7B1B
	v_mul_f32_e32 v62, v27, v62                                // 000000008A04: 0A7C7D1B
	v_mul_f32_e32 v63, v27, v63                                // 000000008A08: 0A7E7F1B
	v_mul_f32_e32 v64, v27, v64                                // 000000008A0C: 0A80811B
	v_mul_f32_e32 v65, v27, v65                                // 000000008A10: 0A82831B
	v_mul_f32_e32 v66, v27, v66                                // 000000008A14: 0A84851B
	v_mul_f32_e32 v67, v27, v67                                // 000000008A18: 0A86871B
	v_mul_f32_e32 v68, v27, v68                                // 000000008A1C: 0A88891B
	v_mul_f32_e32 v69, v27, v69                                // 000000008A20: 0A8A8B1B
	v_mul_f32_e32 v70, v27, v70                                // 000000008A24: 0A8C8D1B
	v_mul_f32_e32 v71, v27, v71                                // 000000008A28: 0A8E8F1B
	v_mul_f32_e32 v72, v27, v72                                // 000000008A2C: 0A90911B
	v_mul_f32_e32 v73, v27, v73                                // 000000008A30: 0A92931B
	v_mul_f32_e32 v74, v27, v74                                // 000000008A34: 0A94951B
	v_mul_f32_e32 v75, v27, v75                                // 000000008A38: 0A96971B
	v_mul_f32_e32 v76, v27, v76                                // 000000008A3C: 0A98991B
	v_mul_f32_e32 v77, v27, v77                                // 000000008A40: 0A9A9B1B
	v_mul_f32_e32 v78, v27, v78                                // 000000008A44: 0A9C9D1B
	v_mul_f32_e32 v79, v27, v79                                // 000000008A48: 0A9E9F1B
	v_mul_f32_e32 v80, v27, v80                                // 000000008A4C: 0AA0A11B
	v_mul_f32_e32 v81, v27, v81                                // 000000008A50: 0AA2A31B
	v_mul_f32_e32 v82, v27, v82                                // 000000008A54: 0AA4A51B
	v_mul_f32_e32 v83, v27, v83                                // 000000008A58: 0AA6A71B
	v_mul_f32_e32 v84, v27, v84                                // 000000008A5C: 0AA8A91B
	v_mul_f32_e32 v85, v27, v85                                // 000000008A60: 0AAAAB1B
	v_mul_f32_e32 v86, v27, v86                                // 000000008A64: 0AACAD1B
	v_mul_f32_e32 v87, v27, v87                                // 000000008A68: 0AAEAF1B
	v_mul_f32_e32 v88, v27, v88                                // 000000008A6C: 0AB0B11B
	v_mul_f32_e32 v89, v27, v89                                // 000000008A70: 0AB2B31B
	v_mul_f32_e32 v90, v27, v90                                // 000000008A74: 0AB4B51B
	v_mul_f32_e32 v91, v27, v91                                // 000000008A78: 0AB6B71B
	v_mul_f32_e32 v92, v27, v92                                // 000000008A7C: 0AB8B91B
	v_mul_f32_e32 v93, v27, v93                                // 000000008A80: 0ABABB1B
	v_mul_f32_e32 v94, v27, v94                                // 000000008A84: 0ABCBD1B
	v_mul_f32_e32 v95, v27, v95                                // 000000008A88: 0ABEBF1B
	v_mul_f32_e32 v96, v27, v96                                // 000000008A8C: 0AC0C11B
	v_mul_f32_e32 v97, v27, v97                                // 000000008A90: 0AC2C31B
	v_mul_f32_e32 v98, v27, v98                                // 000000008A94: 0AC4C51B
	v_mul_f32_e32 v99, v27, v99                                // 000000008A98: 0AC6C71B
	v_mul_f32_e32 v100, v27, v100                              // 000000008A9C: 0AC8C91B
	v_mul_f32_e32 v101, v27, v101                              // 000000008AA0: 0ACACB1B
	v_mul_f32_e32 v102, v27, v102                              // 000000008AA4: 0ACCCD1B
	v_mul_f32_e32 v103, v27, v103                              // 000000008AA8: 0ACECF1B
	v_mul_f32_e32 v104, v27, v104                              // 000000008AAC: 0AD0D11B
	v_mul_f32_e32 v105, v27, v105                              // 000000008AB0: 0AD2D31B
	v_mul_f32_e32 v106, v27, v106                              // 000000008AB4: 0AD4D51B
	v_mul_f32_e32 v107, v27, v107                              // 000000008AB8: 0AD6D71B
	v_mul_f32_e32 v108, v27, v108                              // 000000008ABC: 0AD8D91B
	v_mul_f32_e32 v109, v27, v109                              // 000000008AC0: 0ADADB1B
	v_mul_f32_e32 v110, v27, v110                              // 000000008AC4: 0ADCDD1B
	v_mul_f32_e32 v111, v27, v111                              // 000000008AC8: 0ADEDF1B
	v_mul_f32_e32 v112, v27, v112                              // 000000008ACC: 0AE0E11B
	v_mul_f32_e32 v113, v27, v113                              // 000000008AD0: 0AE2E31B
	v_mul_f32_e32 v114, v27, v114                              // 000000008AD4: 0AE4E51B
	v_mul_f32_e32 v115, v27, v115                              // 000000008AD8: 0AE6E71B
	v_mul_f32_e32 v116, v27, v116                              // 000000008ADC: 0AE8E91B
	v_mul_f32_e32 v117, v27, v117                              // 000000008AE0: 0AEAEB1B
	v_mul_f32_e32 v118, v27, v118                              // 000000008AE4: 0AECED1B
	v_mul_f32_e32 v119, v27, v119                              // 000000008AE8: 0AEEEF1B
	v_mul_f32_e32 v120, v27, v120                              // 000000008AEC: 0AF0F11B
	v_mul_f32_e32 v121, v27, v121                              // 000000008AF0: 0AF2F31B
	v_mul_f32_e32 v122, v27, v122                              // 000000008AF4: 0AF4F51B
	v_mul_f32_e32 v123, v27, v123                              // 000000008AF8: 0AF6F71B
	v_mul_f32_e32 v124, v27, v124                              // 000000008AFC: 0AF8F91B
	v_mul_f32_e32 v125, v27, v125                              // 000000008B00: 0AFAFB1B
	v_mul_f32_e32 v126, v27, v126                              // 000000008B04: 0AFCFD1B
	v_mul_f32_e32 v127, v27, v127                              // 000000008B08: 0AFEFF1B
	v_mul_f32_e32 v128, v27, v128                              // 000000008B0C: 0B01011B
	v_mul_f32_e32 v129, v27, v129                              // 000000008B10: 0B03031B
	v_mul_f32_e32 v130, v27, v130                              // 000000008B14: 0B05051B
	v_mul_f32_e32 v131, v27, v131                              // 000000008B18: 0B07071B
	v_mul_f32_e32 v132, v27, v132                              // 000000008B1C: 0B09091B
	v_mul_f32_e32 v133, v27, v133                              // 000000008B20: 0B0B0B1B
	v_mul_f32_e32 v134, v27, v134                              // 000000008B24: 0B0D0D1B
	v_mul_f32_e32 v135, v27, v135                              // 000000008B28: 0B0F0F1B
	v_mul_f32_e32 v136, v27, v136                              // 000000008B2C: 0B11111B
	v_mul_f32_e32 v137, v27, v137                              // 000000008B30: 0B13131B
	v_mul_f32_e32 v138, v27, v138                              // 000000008B34: 0B15151B
	v_mul_f32_e32 v139, v27, v139                              // 000000008B38: 0B17171B
	v_mul_f32_e32 v140, v27, v140                              // 000000008B3C: 0B19191B
	v_mul_f32_e32 v141, v27, v141                              // 000000008B40: 0B1B1B1B
	v_mul_f32_e32 v142, v27, v142                              // 000000008B44: 0B1D1D1B
	v_mul_f32_e32 v143, v27, v143                              // 000000008B48: 0B1F1F1B
	v_mul_f32_e32 v144, v27, v144                              // 000000008B4C: 0B21211B
	v_mul_f32_e32 v145, v27, v145                              // 000000008B50: 0B23231B
	v_mul_f32_e32 v146, v27, v146                              // 000000008B54: 0B25251B
	v_mul_f32_e32 v147, v27, v147                              // 000000008B58: 0B27271B
	v_mul_f32_e32 v148, v27, v148                              // 000000008B5C: 0B29291B
	v_mul_f32_e32 v149, v27, v149                              // 000000008B60: 0B2B2B1B
	v_mul_f32_e32 v150, v27, v150                              // 000000008B64: 0B2D2D1B
	v_mul_f32_e32 v151, v27, v151                              // 000000008B68: 0B2F2F1B
	v_mul_f32_e32 v152, v27, v152                              // 000000008B6C: 0B31311B
	v_mul_f32_e32 v153, v27, v153                              // 000000008B70: 0B33331B
	v_mul_f32_e32 v154, v27, v154                              // 000000008B74: 0B35351B
	v_mul_f32_e32 v155, v27, v155                              // 000000008B78: 0B37371B
	v_mul_f32_e32 v156, v27, v156                              // 000000008B7C: 0B39391B
	v_mul_f32_e32 v157, v27, v157                              // 000000008B80: 0B3B3B1B
	v_mul_f32_e32 v158, v27, v158                              // 000000008B84: 0B3D3D1B
	v_mul_f32_e32 v159, v27, v159                              // 000000008B88: 0B3F3F1B
	v_mul_f32_e32 v160, v27, v160                              // 000000008B8C: 0B41411B
	v_mul_f32_e32 v161, v27, v161                              // 000000008B90: 0B43431B
	v_mul_f32_e32 v162, v27, v162                              // 000000008B94: 0B45451B
	v_mul_f32_e32 v163, v27, v163                              // 000000008B98: 0B47471B
	v_mul_f32_e32 v164, v27, v164                              // 000000008B9C: 0B49491B
	v_mul_f32_e32 v165, v27, v165                              // 000000008BA0: 0B4B4B1B
	v_mul_f32_e32 v166, v27, v166                              // 000000008BA4: 0B4D4D1B
	v_mul_f32_e32 v167, v27, v167                              // 000000008BA8: 0B4F4F1B
	v_mul_f32_e32 v168, v27, v168                              // 000000008BAC: 0B51511B
	v_mul_f32_e32 v169, v27, v169                              // 000000008BB0: 0B53531B
	v_mul_f32_e32 v170, v27, v170                              // 000000008BB4: 0B55551B
	v_mul_f32_e32 v171, v27, v171                              // 000000008BB8: 0B57571B
	v_mul_f32_e32 v172, v27, v172                              // 000000008BBC: 0B59591B
	v_mul_f32_e32 v173, v27, v173                              // 000000008BC0: 0B5B5B1B
	v_mul_f32_e32 v174, v27, v174                              // 000000008BC4: 0B5D5D1B
	v_mul_f32_e32 v175, v27, v175                              // 000000008BC8: 0B5F5F1B
	v_mul_f32_e32 v176, v27, v176                              // 000000008BCC: 0B61611B
	v_mul_f32_e32 v177, v27, v177                              // 000000008BD0: 0B63631B
	v_mul_f32_e32 v178, v27, v178                              // 000000008BD4: 0B65651B
	v_mul_f32_e32 v179, v27, v179                              // 000000008BD8: 0B67671B
	v_mul_f32_e32 v180, v27, v180                              // 000000008BDC: 0B69691B
	v_mul_f32_e32 v181, v27, v181                              // 000000008BE0: 0B6B6B1B
	v_mul_f32_e32 v182, v27, v182                              // 000000008BE4: 0B6D6D1B
	v_mul_f32_e32 v183, v27, v183                              // 000000008BE8: 0B6F6F1B
	v_mfma_f32_32x32x64_f8f6f4 v[56:71], a[120:127], v[36:43], v[56:71]// 000000008BEC: D3AE0038 0CE24978
	v_mfma_f32_32x32x64_f8f6f4 v[72:87], a[128:135], v[36:43], v[72:87]// 000000008BF4: D3AE0048 0D224980
	v_mfma_f32_32x32x64_f8f6f4 v[88:103], a[136:143], v[36:43], v[88:103]// 000000008BFC: D3AE0058 0D624988
	v_mfma_f32_32x32x64_f8f6f4 v[104:119], a[144:151], v[36:43], v[104:119]// 000000008C04: D3AE0068 0DA24990
	v_mfma_f32_32x32x64_f8f6f4 v[120:135], a[152:159], v[36:43], v[120:135]// 000000008C0C: D3AE0078 0DE24998
	v_mfma_f32_32x32x64_f8f6f4 v[136:151], a[160:167], v[36:43], v[136:151]// 000000008C14: D3AE0088 0E2249A0
	v_mfma_f32_32x32x64_f8f6f4 v[152:167], a[168:175], v[36:43], v[152:167]// 000000008C1C: D3AE0098 0E6249A8
	v_mfma_f32_32x32x64_f8f6f4 v[168:183], a[176:183], v[36:43], v[168:183]// 000000008C24: D3AE00A8 0EA249B0
	s_waitcnt lgkmcnt(0)                                       // 000000008C2C: BF8CC07F
	s_nop 8                                                    // 000000008C30: BF800008
	s_branch label_6A40                                        // 000000008C34: BF820000

0000000000008c38 <label_6A40>:
	v_mov_b32_e32 v27, v4                                      // 000000008C38: 7E360304
	v_mov_b32_e32 v28, v4                                      // 000000008C3C: 7E380304
	s_nop 1                                                    // 000000008C40: BF800001
	v_permlane16_swap_b32_e32 v27, v28                         // 000000008C44: 7E36B31C
	v_mov_b32_e32 v30, v27                                     // 000000008C48: 7E3C031B
	v_mov_b32_e32 v29, v28                                     // 000000008C4C: 7E3A031C
	s_nop 1                                                    // 000000008C50: BF800001
	v_permlane32_swap_b32_e32 v27, v28                         // 000000008C54: 7E36B51C
	v_permlane32_swap_b32_e32 v29, v30                         // 000000008C58: 7E3AB51E
	v_mov_b32_e32 v4, 0                                        // 000000008C5C: 7E080280
	v_add_f32_e32 v4, v27, v4                                  // 000000008C60: 0208091B
	v_add_f32_e32 v4, v28, v4                                  // 000000008C64: 0208091C
	v_add_f32_e32 v4, v29, v4                                  // 000000008C68: 0208091D
	v_add_f32_e32 v4, v30, v4                                  // 000000008C6C: 0208091E
	v_mov_b32_e32 v27, 0                                       // 000000008C70: 7E360280
	v_cmp_eq_u32_e64 s[36:37], v27, v4                         // 000000008C74: D0CA0024 0002091B
	v_mul_f32_e64 v27, v2, s64                                 // 000000008C7C: D105001B 00008102
	v_log_f32_e32 v28, v4                                      // 000000008C84: 7E384304
	s_nop 1                                                    // 000000008C88: BF800001
	v_rcp_f32_e32 v4, v4                                       // 000000008C8C: 7E084504
	s_nop 1                                                    // 000000008C90: BF800001
	v_fma_f32 v1, v28, s63, v27                                // 000000008C94: D1CB0001 046C7F1C
	ds_write_b32 v34, v4                                       // 000000008C9C: D81A0000 00000422
	s_waitcnt lgkmcnt(0)                                       // 000000008CA4: BF8CC07F
	s_barrier                                                  // 000000008CA8: BF8A0000
	ds_read_b32 v4, v35                                        // 000000008CAC: D86C0000 04000023
	s_waitcnt lgkmcnt(0)                                       // 000000008CB4: BF8CC07F
	v_mul_f32_e32 v4, s61, v4                                  // 000000008CB8: 0A08083D
	v_mul_f32_e32 v56, v4, v56                                 // 000000008CBC: 0A707104
	v_mul_f32_e32 v57, v4, v57                                 // 000000008CC0: 0A727304
	v_mul_f32_e32 v58, v4, v58                                 // 000000008CC4: 0A747504
	v_mul_f32_e32 v59, v4, v59                                 // 000000008CC8: 0A767704
	v_mul_f32_e32 v60, v4, v60                                 // 000000008CCC: 0A787904
	v_mul_f32_e32 v61, v4, v61                                 // 000000008CD0: 0A7A7B04
	v_mul_f32_e32 v62, v4, v62                                 // 000000008CD4: 0A7C7D04
	v_mul_f32_e32 v63, v4, v63                                 // 000000008CD8: 0A7E7F04
	v_mul_f32_e32 v64, v4, v64                                 // 000000008CDC: 0A808104
	v_mul_f32_e32 v65, v4, v65                                 // 000000008CE0: 0A828304
	v_mul_f32_e32 v66, v4, v66                                 // 000000008CE4: 0A848504
	v_mul_f32_e32 v67, v4, v67                                 // 000000008CE8: 0A868704
	v_mul_f32_e32 v68, v4, v68                                 // 000000008CEC: 0A888904
	v_mul_f32_e32 v69, v4, v69                                 // 000000008CF0: 0A8A8B04
	v_mul_f32_e32 v70, v4, v70                                 // 000000008CF4: 0A8C8D04
	v_mul_f32_e32 v71, v4, v71                                 // 000000008CF8: 0A8E8F04
	v_mul_f32_e32 v72, v4, v72                                 // 000000008CFC: 0A909104
	v_mul_f32_e32 v73, v4, v73                                 // 000000008D00: 0A929304
	v_mul_f32_e32 v74, v4, v74                                 // 000000008D04: 0A949504
	v_mul_f32_e32 v75, v4, v75                                 // 000000008D08: 0A969704
	v_mul_f32_e32 v76, v4, v76                                 // 000000008D0C: 0A989904
	v_mul_f32_e32 v77, v4, v77                                 // 000000008D10: 0A9A9B04
	v_mul_f32_e32 v78, v4, v78                                 // 000000008D14: 0A9C9D04
	v_mul_f32_e32 v79, v4, v79                                 // 000000008D18: 0A9E9F04
	v_mul_f32_e32 v80, v4, v80                                 // 000000008D1C: 0AA0A104
	v_mul_f32_e32 v81, v4, v81                                 // 000000008D20: 0AA2A304
	v_mul_f32_e32 v82, v4, v82                                 // 000000008D24: 0AA4A504
	v_mul_f32_e32 v83, v4, v83                                 // 000000008D28: 0AA6A704
	v_mul_f32_e32 v84, v4, v84                                 // 000000008D2C: 0AA8A904
	v_mul_f32_e32 v85, v4, v85                                 // 000000008D30: 0AAAAB04
	v_mul_f32_e32 v86, v4, v86                                 // 000000008D34: 0AACAD04
	v_mul_f32_e32 v87, v4, v87                                 // 000000008D38: 0AAEAF04
	v_mul_f32_e32 v88, v4, v88                                 // 000000008D3C: 0AB0B104
	v_mul_f32_e32 v89, v4, v89                                 // 000000008D40: 0AB2B304
	v_mul_f32_e32 v90, v4, v90                                 // 000000008D44: 0AB4B504
	v_mul_f32_e32 v91, v4, v91                                 // 000000008D48: 0AB6B704
	v_mul_f32_e32 v92, v4, v92                                 // 000000008D4C: 0AB8B904
	v_mul_f32_e32 v93, v4, v93                                 // 000000008D50: 0ABABB04
	v_mul_f32_e32 v94, v4, v94                                 // 000000008D54: 0ABCBD04
	v_mul_f32_e32 v95, v4, v95                                 // 000000008D58: 0ABEBF04
	v_mul_f32_e32 v96, v4, v96                                 // 000000008D5C: 0AC0C104
	v_mul_f32_e32 v97, v4, v97                                 // 000000008D60: 0AC2C304
	v_mul_f32_e32 v98, v4, v98                                 // 000000008D64: 0AC4C504
	v_mul_f32_e32 v99, v4, v99                                 // 000000008D68: 0AC6C704
	v_mul_f32_e32 v100, v4, v100                               // 000000008D6C: 0AC8C904
	v_mul_f32_e32 v101, v4, v101                               // 000000008D70: 0ACACB04
	v_mul_f32_e32 v102, v4, v102                               // 000000008D74: 0ACCCD04
	v_mul_f32_e32 v103, v4, v103                               // 000000008D78: 0ACECF04
	v_mul_f32_e32 v104, v4, v104                               // 000000008D7C: 0AD0D104
	v_mul_f32_e32 v105, v4, v105                               // 000000008D80: 0AD2D304
	v_mul_f32_e32 v106, v4, v106                               // 000000008D84: 0AD4D504
	v_mul_f32_e32 v107, v4, v107                               // 000000008D88: 0AD6D704
	v_mul_f32_e32 v108, v4, v108                               // 000000008D8C: 0AD8D904
	v_mul_f32_e32 v109, v4, v109                               // 000000008D90: 0ADADB04
	v_mul_f32_e32 v110, v4, v110                               // 000000008D94: 0ADCDD04
	v_mul_f32_e32 v111, v4, v111                               // 000000008D98: 0ADEDF04
	v_mul_f32_e32 v112, v4, v112                               // 000000008D9C: 0AE0E104
	v_mul_f32_e32 v113, v4, v113                               // 000000008DA0: 0AE2E304
	v_mul_f32_e32 v114, v4, v114                               // 000000008DA4: 0AE4E504
	v_mul_f32_e32 v115, v4, v115                               // 000000008DA8: 0AE6E704
	v_mul_f32_e32 v116, v4, v116                               // 000000008DAC: 0AE8E904
	v_mul_f32_e32 v117, v4, v117                               // 000000008DB0: 0AEAEB04
	v_mul_f32_e32 v118, v4, v118                               // 000000008DB4: 0AECED04
	v_mul_f32_e32 v119, v4, v119                               // 000000008DB8: 0AEEEF04
	v_mul_f32_e32 v120, v4, v120                               // 000000008DBC: 0AF0F104
	v_mul_f32_e32 v121, v4, v121                               // 000000008DC0: 0AF2F304
	v_mul_f32_e32 v122, v4, v122                               // 000000008DC4: 0AF4F504
	v_mul_f32_e32 v123, v4, v123                               // 000000008DC8: 0AF6F704
	v_mul_f32_e32 v124, v4, v124                               // 000000008DCC: 0AF8F904
	v_mul_f32_e32 v125, v4, v125                               // 000000008DD0: 0AFAFB04
	v_mul_f32_e32 v126, v4, v126                               // 000000008DD4: 0AFCFD04
	v_mul_f32_e32 v127, v4, v127                               // 000000008DD8: 0AFEFF04
	v_mul_f32_e32 v128, v4, v128                               // 000000008DDC: 0B010104
	v_mul_f32_e32 v129, v4, v129                               // 000000008DE0: 0B030304
	v_mul_f32_e32 v130, v4, v130                               // 000000008DE4: 0B050504
	v_mul_f32_e32 v131, v4, v131                               // 000000008DE8: 0B070704
	v_mul_f32_e32 v132, v4, v132                               // 000000008DEC: 0B090904
	v_mul_f32_e32 v133, v4, v133                               // 000000008DF0: 0B0B0B04
	v_mul_f32_e32 v134, v4, v134                               // 000000008DF4: 0B0D0D04
	v_mul_f32_e32 v135, v4, v135                               // 000000008DF8: 0B0F0F04
	v_mul_f32_e32 v136, v4, v136                               // 000000008DFC: 0B111104
	v_mul_f32_e32 v137, v4, v137                               // 000000008E00: 0B131304
	v_mul_f32_e32 v138, v4, v138                               // 000000008E04: 0B151504
	v_mul_f32_e32 v139, v4, v139                               // 000000008E08: 0B171704
	v_mul_f32_e32 v140, v4, v140                               // 000000008E0C: 0B191904
	v_mul_f32_e32 v141, v4, v141                               // 000000008E10: 0B1B1B04
	v_mul_f32_e32 v142, v4, v142                               // 000000008E14: 0B1D1D04
	v_mul_f32_e32 v143, v4, v143                               // 000000008E18: 0B1F1F04
	v_mul_f32_e32 v144, v4, v144                               // 000000008E1C: 0B212104
	v_mul_f32_e32 v145, v4, v145                               // 000000008E20: 0B232304
	v_mul_f32_e32 v146, v4, v146                               // 000000008E24: 0B252504
	v_mul_f32_e32 v147, v4, v147                               // 000000008E28: 0B272704
	v_mul_f32_e32 v148, v4, v148                               // 000000008E2C: 0B292904
	v_mul_f32_e32 v149, v4, v149                               // 000000008E30: 0B2B2B04
	v_mul_f32_e32 v150, v4, v150                               // 000000008E34: 0B2D2D04
	v_mul_f32_e32 v151, v4, v151                               // 000000008E38: 0B2F2F04
	v_mul_f32_e32 v152, v4, v152                               // 000000008E3C: 0B313104
	v_mul_f32_e32 v153, v4, v153                               // 000000008E40: 0B333304
	v_mul_f32_e32 v154, v4, v154                               // 000000008E44: 0B353504
	v_mul_f32_e32 v155, v4, v155                               // 000000008E48: 0B373704
	v_mul_f32_e32 v156, v4, v156                               // 000000008E4C: 0B393904
	v_mul_f32_e32 v157, v4, v157                               // 000000008E50: 0B3B3B04
	v_mul_f32_e32 v158, v4, v158                               // 000000008E54: 0B3D3D04
	v_mul_f32_e32 v159, v4, v159                               // 000000008E58: 0B3F3F04
	v_mul_f32_e32 v160, v4, v160                               // 000000008E5C: 0B414104
	v_mul_f32_e32 v161, v4, v161                               // 000000008E60: 0B434304
	v_mul_f32_e32 v162, v4, v162                               // 000000008E64: 0B454504
	v_mul_f32_e32 v163, v4, v163                               // 000000008E68: 0B474704
	v_mul_f32_e32 v164, v4, v164                               // 000000008E6C: 0B494904
	v_mul_f32_e32 v165, v4, v165                               // 000000008E70: 0B4B4B04
	v_mul_f32_e32 v166, v4, v166                               // 000000008E74: 0B4D4D04
	v_mul_f32_e32 v167, v4, v167                               // 000000008E78: 0B4F4F04
	v_mul_f32_e32 v168, v4, v168                               // 000000008E7C: 0B515104
	v_mul_f32_e32 v169, v4, v169                               // 000000008E80: 0B535304
	v_mul_f32_e32 v170, v4, v170                               // 000000008E84: 0B555504
	v_mul_f32_e32 v171, v4, v171                               // 000000008E88: 0B575704
	v_mul_f32_e32 v172, v4, v172                               // 000000008E8C: 0B595904
	v_mul_f32_e32 v173, v4, v173                               // 000000008E90: 0B5B5B04
	v_mul_f32_e32 v174, v4, v174                               // 000000008E94: 0B5D5D04
	v_mul_f32_e32 v175, v4, v175                               // 000000008E98: 0B5F5F04
	v_mul_f32_e32 v176, v4, v176                               // 000000008E9C: 0B616104
	v_mul_f32_e32 v177, v4, v177                               // 000000008EA0: 0B636304
	v_mul_f32_e32 v178, v4, v178                               // 000000008EA4: 0B656504
	v_mul_f32_e32 v179, v4, v179                               // 000000008EA8: 0B676704
	v_mul_f32_e32 v180, v4, v180                               // 000000008EAC: 0B696904
	v_mul_f32_e32 v181, v4, v181                               // 000000008EB0: 0B6B6B04
	v_mul_f32_e32 v182, v4, v182                               // 000000008EB4: 0B6D6D04
	v_mul_f32_e32 v183, v4, v183                               // 000000008EB8: 0B6F6F04
	s_cmp_lt_i32 s87, 0                                        // 000000008EBC: BF048057
	s_cbranch_scc1 label_73BC                                  // 000000008EC0: BF8501BC
	s_mul_i32 s75, 0x800, 16                                   // 000000008EC4: 924B90FF 00000800
	s_mul_i32 s56, s87, s75                                    // 000000008ECC: 92384B57
	s_add_u32 s8, s56, s8                                      // 000000008ED0: 80080838
	s_addc_u32 s9, 0, s9                                       // 000000008ED4: 82090980
	s_mul_i32 s56, s75, s81                                    // 000000008ED8: 9238514B
	s_mov_b32 s10, s56                                         // 000000008EDC: BE8A0038
	s_mul_i32 s56, 0x200, s7                                   // 000000008EE0: 923807FF 00000200
	v_lshrrev_b32_e32 v27, 5, v0                               // 000000008EE8: 20360085
	s_mov_b32 s57, 0x800                                       // 000000008EEC: BEB900FF 00000800
	v_mul_i32_i24_e32 v27, s57, v27                            // 000000008EF4: 0C363639
	v_and_b32_e32 v5, 31, v0                                   // 000000008EF8: 260A009F
	v_lshlrev_b32_e32 v5, 4, v5                                // 000000008EFC: 240A0A84
	v_add_u32_e32 v5, v5, v27                                  // 000000008F00: 680A3705
	v_add_u32_e64 v5, v5, s56                                  // 000000008F04: D1340005 00007105
	s_mul_i32 s57, 4, 16                                       // 000000008F0C: 92399084
	s_mul_i32 s56, s87, s57                                    // 000000008F10: 92383957
	s_add_u32 s12, s56, s12                                    // 000000008F14: 800C0C38
	s_addc_u32 s13, 0, s13                                     // 000000008F18: 820D0D80
	s_mul_i32 s58, s57, s81                                    // 000000008F1C: 923A5139
	s_mov_b32 s14, s58                                         // 000000008F20: BE8E003A
	v_and_b32_e32 v4, 15, v0                                   // 000000008F24: 2608008F
	v_lshlrev_b32_e32 v4, 2, v4                                // 000000008F28: 24080882
	s_mul_i32 s56, s57, s7                                     // 000000008F2C: 92380739
	v_add_u32_e64 v4, v4, s56                                  // 000000008F30: D1340004 00007104
	v_lshlrev_b32_e32 v2, 4, v0                                // 000000008F38: 24040084
	s_mov_b32 s56, 0x9000                                      // 000000008F3C: BEB800FF 00009000
	s_mul_i32 s56, s7, s56                                     // 000000008F44: 92383807
	v_add_u32_e32 v2, s56, v2                                  // 000000008F48: 68040438
	ds_write_b128 v2, v[56:59]                                 // 000000008F4C: D9BE0000 00003802
	s_mov_b32 s56, 0x410                                       // 000000008F54: BEB800FF 00000410
	v_add_u32_e32 v2, s56, v2                                  // 000000008F5C: 68040438
	ds_write_b128 v2, v[60:63]                                 // 000000008F60: D9BE0000 00003C02
	s_mov_b32 s56, 0x410                                       // 000000008F68: BEB800FF 00000410
	v_add_u32_e32 v2, s56, v2                                  // 000000008F70: 68040438
	ds_write_b128 v2, v[64:67]                                 // 000000008F74: D9BE0000 00004002
	s_mov_b32 s56, 0x410                                       // 000000008F7C: BEB800FF 00000410
	v_add_u32_e32 v2, s56, v2                                  // 000000008F84: 68040438
	ds_write_b128 v2, v[68:71]                                 // 000000008F88: D9BE0000 00004402
	s_mov_b32 s56, 0x410                                       // 000000008F90: BEB800FF 00000410
	v_add_u32_e32 v2, s56, v2                                  // 000000008F98: 68040438
	ds_write_b128 v2, v[72:75]                                 // 000000008F9C: D9BE0000 00004802
	s_mov_b32 s56, 0x410                                       // 000000008FA4: BEB800FF 00000410
	v_add_u32_e32 v2, s56, v2                                  // 000000008FAC: 68040438
	ds_write_b128 v2, v[76:79]                                 // 000000008FB0: D9BE0000 00004C02
	s_mov_b32 s56, 0x410                                       // 000000008FB8: BEB800FF 00000410
	v_add_u32_e32 v2, s56, v2                                  // 000000008FC0: 68040438
	ds_write_b128 v2, v[80:83]                                 // 000000008FC4: D9BE0000 00005002
	s_mov_b32 s56, 0x410                                       // 000000008FCC: BEB800FF 00000410
	v_add_u32_e32 v2, s56, v2                                  // 000000008FD4: 68040438
	ds_write_b128 v2, v[84:87]                                 // 000000008FD8: D9BE0000 00005402
	s_mov_b32 s56, 0x410                                       // 000000008FE0: BEB800FF 00000410
	v_add_u32_e32 v2, s56, v2                                  // 000000008FE8: 68040438
	ds_write_b128 v2, v[88:91]                                 // 000000008FEC: D9BE0000 00005802
	s_mov_b32 s56, 0x410                                       // 000000008FF4: BEB800FF 00000410
	v_add_u32_e32 v2, s56, v2                                  // 000000008FFC: 68040438
	ds_write_b128 v2, v[92:95]                                 // 000000009000: D9BE0000 00005C02
	s_mov_b32 s56, 0x410                                       // 000000009008: BEB800FF 00000410
	v_add_u32_e32 v2, s56, v2                                  // 000000009010: 68040438
	ds_write_b128 v2, v[96:99]                                 // 000000009014: D9BE0000 00006002
	s_mov_b32 s56, 0x410                                       // 00000000901C: BEB800FF 00000410
	v_add_u32_e32 v2, s56, v2                                  // 000000009024: 68040438
	ds_write_b128 v2, v[100:103]                               // 000000009028: D9BE0000 00006402
	s_mov_b32 s56, 0x410                                       // 000000009030: BEB800FF 00000410
	v_add_u32_e32 v2, s56, v2                                  // 000000009038: 68040438
	ds_write_b128 v2, v[104:107]                               // 00000000903C: D9BE0000 00006802
	s_mov_b32 s56, 0x410                                       // 000000009044: BEB800FF 00000410
	v_add_u32_e32 v2, s56, v2                                  // 00000000904C: 68040438
	ds_write_b128 v2, v[108:111]                               // 000000009050: D9BE0000 00006C02
	s_mov_b32 s56, 0x410                                       // 000000009058: BEB800FF 00000410
	v_add_u32_e32 v2, s56, v2                                  // 000000009060: 68040438
	ds_write_b128 v2, v[112:115]                               // 000000009064: D9BE0000 00007002
	s_mov_b32 s56, 0x410                                       // 00000000906C: BEB800FF 00000410
	v_add_u32_e32 v2, s56, v2                                  // 000000009074: 68040438
	ds_write_b128 v2, v[116:119]                               // 000000009078: D9BE0000 00007402
	s_mov_b32 s56, 0x410                                       // 000000009080: BEB800FF 00000410
	v_add_u32_e32 v2, s56, v2                                  // 000000009088: 68040438
	ds_write_b128 v2, v[120:123]                               // 00000000908C: D9BE0000 00007802
	s_mov_b32 s56, 0x410                                       // 000000009094: BEB800FF 00000410
	v_add_u32_e32 v2, s56, v2                                  // 00000000909C: 68040438
	ds_write_b128 v2, v[124:127]                               // 0000000090A0: D9BE0000 00007C02
	s_mov_b32 s56, 0x410                                       // 0000000090A8: BEB800FF 00000410
	v_add_u32_e32 v2, s56, v2                                  // 0000000090B0: 68040438
	ds_write_b128 v2, v[128:131]                               // 0000000090B4: D9BE0000 00008002
	s_mov_b32 s56, 0x410                                       // 0000000090BC: BEB800FF 00000410
	v_add_u32_e32 v2, s56, v2                                  // 0000000090C4: 68040438
	ds_write_b128 v2, v[132:135]                               // 0000000090C8: D9BE0000 00008402
	s_mov_b32 s56, 0x410                                       // 0000000090D0: BEB800FF 00000410
	v_add_u32_e32 v2, s56, v2                                  // 0000000090D8: 68040438
	ds_write_b128 v2, v[136:139]                               // 0000000090DC: D9BE0000 00008802
	s_mov_b32 s56, 0x410                                       // 0000000090E4: BEB800FF 00000410
	v_add_u32_e32 v2, s56, v2                                  // 0000000090EC: 68040438
	ds_write_b128 v2, v[140:143]                               // 0000000090F0: D9BE0000 00008C02
	s_mov_b32 s56, 0x410                                       // 0000000090F8: BEB800FF 00000410
	v_add_u32_e32 v2, s56, v2                                  // 000000009100: 68040438
	ds_write_b128 v2, v[144:147]                               // 000000009104: D9BE0000 00009002
	s_mov_b32 s56, 0x410                                       // 00000000910C: BEB800FF 00000410
	v_add_u32_e32 v2, s56, v2                                  // 000000009114: 68040438
	ds_write_b128 v2, v[148:151]                               // 000000009118: D9BE0000 00009402
	s_mov_b32 s56, 0x410                                       // 000000009120: BEB800FF 00000410
	v_add_u32_e32 v2, s56, v2                                  // 000000009128: 68040438
	ds_write_b128 v2, v[152:155]                               // 00000000912C: D9BE0000 00009802
	s_mov_b32 s56, 0x410                                       // 000000009134: BEB800FF 00000410
	v_add_u32_e32 v2, s56, v2                                  // 00000000913C: 68040438
	ds_write_b128 v2, v[156:159]                               // 000000009140: D9BE0000 00009C02
	s_mov_b32 s56, 0x410                                       // 000000009148: BEB800FF 00000410
	v_add_u32_e32 v2, s56, v2                                  // 000000009150: 68040438
	ds_write_b128 v2, v[160:163]                               // 000000009154: D9BE0000 0000A002
	s_mov_b32 s56, 0x410                                       // 00000000915C: BEB800FF 00000410
	v_add_u32_e32 v2, s56, v2                                  // 000000009164: 68040438
	ds_write_b128 v2, v[164:167]                               // 000000009168: D9BE0000 0000A402
	s_mov_b32 s56, 0x410                                       // 000000009170: BEB800FF 00000410
	v_add_u32_e32 v2, s56, v2                                  // 000000009178: 68040438
	ds_write_b128 v2, v[168:171]                               // 00000000917C: D9BE0000 0000A802
	s_mov_b32 s56, 0x410                                       // 000000009184: BEB800FF 00000410
	v_add_u32_e32 v2, s56, v2                                  // 00000000918C: 68040438
	ds_write_b128 v2, v[172:175]                               // 000000009190: D9BE0000 0000AC02
	s_mov_b32 s56, 0x410                                       // 000000009198: BEB800FF 00000410
	v_add_u32_e32 v2, s56, v2                                  // 0000000091A0: 68040438
	ds_write_b128 v2, v[176:179]                               // 0000000091A4: D9BE0000 0000B002
	s_mov_b32 s56, 0x410                                       // 0000000091AC: BEB800FF 00000410
	v_add_u32_e32 v2, s56, v2                                  // 0000000091B4: 68040438
	ds_write_b128 v2, v[180:183]                               // 0000000091B8: D9BE0000 0000B402
	s_mov_b32 s56, 0x410                                       // 0000000091C0: BEB800FF 00000410
	v_add_u32_e32 v2, s56, v2                                  // 0000000091C8: 68040438
	v_lshrrev_b32_e32 v27, 1, v0                               // 0000000091CC: 20360081
	s_mov_b32 s56, 0x410                                       // 0000000091D0: BEB800FF 00000410
	v_mul_i32_i24_e32 v27, s56, v27                            // 0000000091D8: 0C363638
	v_and_b32_e32 v28, 1, v0                                   // 0000000091DC: 26380081
	s_mov_b32 s57, 0x200                                       // 0000000091E0: BEB900FF 00000200
	v_mul_i32_i24_e32 v28, s57, v28                            // 0000000091E8: 0C383839
	v_add_u32_e32 v2, v27, v28                                 // 0000000091EC: 6804391B
	s_mov_b32 s57, 0x9000                                      // 0000000091F0: BEB900FF 00009000
	s_mul_i32 s56, s57, s7                                     // 0000000091F8: 92380739
	v_add_u32_e32 v2, s56, v2                                  // 0000000091FC: 68040438
	s_lshr_b32 s56, s7, 1                                      // 000000009200: 8F388107
	s_mov_b32 s57, 0x10000                                     // 000000009204: BEB900FF 00010000
	s_mul_i32 s56, s56, s57                                    // 00000000920C: 92383938
	s_and_b32 s57, 1, s7                                       // 000000009210: 86390781
	s_lshl_b32 s57, s57, 10                                    // 000000009214: 8E398A39
	s_add_i32 s56, s56, s57                                    // 000000009218: 81383938
	v_lshlrev_b32_e32 v5, 4, v0                                // 00000000921C: 240A0084
	v_add_u32_e32 v5, s56, v5                                  // 000000009220: 680A0A38
	s_waitcnt lgkmcnt(0)                                       // 000000009224: BF8CC07F
	ds_read_b128 v[56:59], v2                                  // 000000009228: D9FE0000 38000002
	ds_read_b128 v[60:63], v2 offset:16                        // 000000009230: D9FE0010 3C000002
	s_waitcnt lgkmcnt(1)                                       // 000000009238: BF8CC17F
	buffer_store_dwordx4 v[56:59], v5, s[8:11], 0 offen        // 00000000923C: E07C1000 80023805
	v_add_u32_e32 v5, 0x800, v5                                // 000000009244: 680A0AFF 00000800
	ds_read_b128 v[64:67], v2 offset:32                        // 00000000924C: D9FE0020 40000002
	s_waitcnt lgkmcnt(1)                                       // 000000009254: BF8CC17F
	buffer_store_dwordx4 v[60:63], v5, s[8:11], 0 offen        // 000000009258: E07C1000 80023C05
	v_add_u32_e32 v5, 0x800, v5                                // 000000009260: 680A0AFF 00000800
	ds_read_b128 v[68:71], v2 offset:48                        // 000000009268: D9FE0030 44000002
	s_waitcnt lgkmcnt(1)                                       // 000000009270: BF8CC17F
	buffer_store_dwordx4 v[64:67], v5, s[8:11], 0 offen        // 000000009274: E07C1000 80024005
	v_add_u32_e32 v5, 0x800, v5                                // 00000000927C: 680A0AFF 00000800
	s_waitcnt lgkmcnt(0)                                       // 000000009284: BF8CC07F
	buffer_store_dwordx4 v[68:71], v5, s[8:11], 0 offen        // 000000009288: E07C1000 80024405
	v_add_u32_e32 v5, 0x800, v5                                // 000000009290: 680A0AFF 00000800
	ds_read_b128 v[72:75], v2 offset:64                        // 000000009298: D9FE0040 48000002
	ds_read_b128 v[76:79], v2 offset:80                        // 0000000092A0: D9FE0050 4C000002
	s_waitcnt lgkmcnt(1)                                       // 0000000092A8: BF8CC17F
	buffer_store_dwordx4 v[72:75], v5, s[8:11], 0 offen        // 0000000092AC: E07C1000 80024805
	v_add_u32_e32 v5, 0x800, v5                                // 0000000092B4: 680A0AFF 00000800
	ds_read_b128 v[80:83], v2 offset:96                        // 0000000092BC: D9FE0060 50000002
	s_waitcnt lgkmcnt(1)                                       // 0000000092C4: BF8CC17F
	buffer_store_dwordx4 v[76:79], v5, s[8:11], 0 offen        // 0000000092C8: E07C1000 80024C05
	v_add_u32_e32 v5, 0x800, v5                                // 0000000092D0: 680A0AFF 00000800
	ds_read_b128 v[84:87], v2 offset:112                       // 0000000092D8: D9FE0070 54000002
	s_waitcnt lgkmcnt(1)                                       // 0000000092E0: BF8CC17F
	buffer_store_dwordx4 v[80:83], v5, s[8:11], 0 offen        // 0000000092E4: E07C1000 80025005
	v_add_u32_e32 v5, 0x800, v5                                // 0000000092EC: 680A0AFF 00000800
	s_waitcnt lgkmcnt(0)                                       // 0000000092F4: BF8CC07F
	buffer_store_dwordx4 v[84:87], v5, s[8:11], 0 offen        // 0000000092F8: E07C1000 80025405
	v_add_u32_e32 v5, 0x800, v5                                // 000000009300: 680A0AFF 00000800
	ds_read_b128 v[88:91], v2 offset:128                       // 000000009308: D9FE0080 58000002
	ds_read_b128 v[92:95], v2 offset:144                       // 000000009310: D9FE0090 5C000002
	s_waitcnt lgkmcnt(1)                                       // 000000009318: BF8CC17F
	buffer_store_dwordx4 v[88:91], v5, s[8:11], 0 offen        // 00000000931C: E07C1000 80025805
	v_add_u32_e32 v5, 0x800, v5                                // 000000009324: 680A0AFF 00000800
	ds_read_b128 v[96:99], v2 offset:160                       // 00000000932C: D9FE00A0 60000002
	s_waitcnt lgkmcnt(1)                                       // 000000009334: BF8CC17F
	buffer_store_dwordx4 v[92:95], v5, s[8:11], 0 offen        // 000000009338: E07C1000 80025C05
	v_add_u32_e32 v5, 0x800, v5                                // 000000009340: 680A0AFF 00000800
	ds_read_b128 v[100:103], v2 offset:176                     // 000000009348: D9FE00B0 64000002
	s_waitcnt lgkmcnt(1)                                       // 000000009350: BF8CC17F
	buffer_store_dwordx4 v[96:99], v5, s[8:11], 0 offen        // 000000009354: E07C1000 80026005
	v_add_u32_e32 v5, 0x800, v5                                // 00000000935C: 680A0AFF 00000800
	s_waitcnt lgkmcnt(0)                                       // 000000009364: BF8CC07F
	buffer_store_dwordx4 v[100:103], v5, s[8:11], 0 offen      // 000000009368: E07C1000 80026405
	v_add_u32_e32 v5, 0x800, v5                                // 000000009370: 680A0AFF 00000800
	ds_read_b128 v[104:107], v2 offset:192                     // 000000009378: D9FE00C0 68000002
	ds_read_b128 v[108:111], v2 offset:208                     // 000000009380: D9FE00D0 6C000002
	s_waitcnt lgkmcnt(1)                                       // 000000009388: BF8CC17F
	buffer_store_dwordx4 v[104:107], v5, s[8:11], 0 offen      // 00000000938C: E07C1000 80026805
	v_add_u32_e32 v5, 0x800, v5                                // 000000009394: 680A0AFF 00000800
	ds_read_b128 v[112:115], v2 offset:224                     // 00000000939C: D9FE00E0 70000002
	s_waitcnt lgkmcnt(1)                                       // 0000000093A4: BF8CC17F
	buffer_store_dwordx4 v[108:111], v5, s[8:11], 0 offen      // 0000000093A8: E07C1000 80026C05
	v_add_u32_e32 v5, 0x800, v5                                // 0000000093B0: 680A0AFF 00000800
	ds_read_b128 v[116:119], v2 offset:240                     // 0000000093B8: D9FE00F0 74000002
	s_waitcnt lgkmcnt(1)                                       // 0000000093C0: BF8CC17F
	buffer_store_dwordx4 v[112:115], v5, s[8:11], 0 offen      // 0000000093C4: E07C1000 80027005
	v_add_u32_e32 v5, 0x800, v5                                // 0000000093CC: 680A0AFF 00000800
	s_waitcnt lgkmcnt(0)                                       // 0000000093D4: BF8CC07F
	buffer_store_dwordx4 v[116:119], v5, s[8:11], 0 offen      // 0000000093D8: E07C1000 80027405
	v_add_u32_e32 v5, 0x800, v5                                // 0000000093E0: 680A0AFF 00000800
	ds_read_b128 v[120:123], v2 offset:256                     // 0000000093E8: D9FE0100 78000002
	ds_read_b128 v[124:127], v2 offset:272                     // 0000000093F0: D9FE0110 7C000002
	s_waitcnt lgkmcnt(1)                                       // 0000000093F8: BF8CC17F
	buffer_store_dwordx4 v[120:123], v5, s[8:11], 0 offen      // 0000000093FC: E07C1000 80027805
	v_add_u32_e32 v5, 0x800, v5                                // 000000009404: 680A0AFF 00000800
	ds_read_b128 v[128:131], v2 offset:288                     // 00000000940C: D9FE0120 80000002
	s_waitcnt lgkmcnt(1)                                       // 000000009414: BF8CC17F
	buffer_store_dwordx4 v[124:127], v5, s[8:11], 0 offen      // 000000009418: E07C1000 80027C05
	v_add_u32_e32 v5, 0x800, v5                                // 000000009420: 680A0AFF 00000800
	ds_read_b128 v[132:135], v2 offset:304                     // 000000009428: D9FE0130 84000002
	s_waitcnt lgkmcnt(1)                                       // 000000009430: BF8CC17F
	buffer_store_dwordx4 v[128:131], v5, s[8:11], 0 offen      // 000000009434: E07C1000 80028005
	v_add_u32_e32 v5, 0x800, v5                                // 00000000943C: 680A0AFF 00000800
	s_waitcnt lgkmcnt(0)                                       // 000000009444: BF8CC07F
	buffer_store_dwordx4 v[132:135], v5, s[8:11], 0 offen      // 000000009448: E07C1000 80028405
	v_add_u32_e32 v5, 0x800, v5                                // 000000009450: 680A0AFF 00000800
	ds_read_b128 v[136:139], v2 offset:320                     // 000000009458: D9FE0140 88000002
	ds_read_b128 v[140:143], v2 offset:336                     // 000000009460: D9FE0150 8C000002
	s_waitcnt lgkmcnt(1)                                       // 000000009468: BF8CC17F
	buffer_store_dwordx4 v[136:139], v5, s[8:11], 0 offen      // 00000000946C: E07C1000 80028805
	v_add_u32_e32 v5, 0x800, v5                                // 000000009474: 680A0AFF 00000800
	ds_read_b128 v[144:147], v2 offset:352                     // 00000000947C: D9FE0160 90000002
	s_waitcnt lgkmcnt(1)                                       // 000000009484: BF8CC17F
	buffer_store_dwordx4 v[140:143], v5, s[8:11], 0 offen      // 000000009488: E07C1000 80028C05
	v_add_u32_e32 v5, 0x800, v5                                // 000000009490: 680A0AFF 00000800
	ds_read_b128 v[148:151], v2 offset:368                     // 000000009498: D9FE0170 94000002
	s_waitcnt lgkmcnt(1)                                       // 0000000094A0: BF8CC17F
	buffer_store_dwordx4 v[144:147], v5, s[8:11], 0 offen      // 0000000094A4: E07C1000 80029005
	v_add_u32_e32 v5, 0x800, v5                                // 0000000094AC: 680A0AFF 00000800
	s_waitcnt lgkmcnt(0)                                       // 0000000094B4: BF8CC07F
	buffer_store_dwordx4 v[148:151], v5, s[8:11], 0 offen      // 0000000094B8: E07C1000 80029405
	v_add_u32_e32 v5, 0x800, v5                                // 0000000094C0: 680A0AFF 00000800
	ds_read_b128 v[152:155], v2 offset:384                     // 0000000094C8: D9FE0180 98000002
	ds_read_b128 v[156:159], v2 offset:400                     // 0000000094D0: D9FE0190 9C000002
	s_waitcnt lgkmcnt(1)                                       // 0000000094D8: BF8CC17F
	buffer_store_dwordx4 v[152:155], v5, s[8:11], 0 offen      // 0000000094DC: E07C1000 80029805
	v_add_u32_e32 v5, 0x800, v5                                // 0000000094E4: 680A0AFF 00000800
	ds_read_b128 v[160:163], v2 offset:416                     // 0000000094EC: D9FE01A0 A0000002
	s_waitcnt lgkmcnt(1)                                       // 0000000094F4: BF8CC17F
	buffer_store_dwordx4 v[156:159], v5, s[8:11], 0 offen      // 0000000094F8: E07C1000 80029C05
	v_add_u32_e32 v5, 0x800, v5                                // 000000009500: 680A0AFF 00000800
	ds_read_b128 v[164:167], v2 offset:432                     // 000000009508: D9FE01B0 A4000002
	s_waitcnt lgkmcnt(1)                                       // 000000009510: BF8CC17F
	buffer_store_dwordx4 v[160:163], v5, s[8:11], 0 offen      // 000000009514: E07C1000 8002A005
	v_add_u32_e32 v5, 0x800, v5                                // 00000000951C: 680A0AFF 00000800
	s_waitcnt lgkmcnt(0)                                       // 000000009524: BF8CC07F
	buffer_store_dwordx4 v[164:167], v5, s[8:11], 0 offen      // 000000009528: E07C1000 8002A405
	v_add_u32_e32 v5, 0x800, v5                                // 000000009530: 680A0AFF 00000800
	ds_read_b128 v[168:171], v2 offset:448                     // 000000009538: D9FE01C0 A8000002
	ds_read_b128 v[172:175], v2 offset:464                     // 000000009540: D9FE01D0 AC000002
	s_waitcnt lgkmcnt(1)                                       // 000000009548: BF8CC17F
	buffer_store_dwordx4 v[168:171], v5, s[8:11], 0 offen      // 00000000954C: E07C1000 8002A805
	v_add_u32_e32 v5, 0x800, v5                                // 000000009554: 680A0AFF 00000800
	ds_read_b128 v[176:179], v2 offset:480                     // 00000000955C: D9FE01E0 B0000002
	s_waitcnt lgkmcnt(1)                                       // 000000009564: BF8CC17F
	buffer_store_dwordx4 v[172:175], v5, s[8:11], 0 offen      // 000000009568: E07C1000 8002AC05
	v_add_u32_e32 v5, 0x800, v5                                // 000000009570: 680A0AFF 00000800
	ds_read_b128 v[180:183], v2 offset:496                     // 000000009578: D9FE01F0 B4000002
	s_waitcnt lgkmcnt(1)                                       // 000000009580: BF8CC17F
	buffer_store_dwordx4 v[176:179], v5, s[8:11], 0 offen      // 000000009584: E07C1000 8002B005
	v_add_u32_e32 v5, 0x800, v5                                // 00000000958C: 680A0AFF 00000800
	s_waitcnt lgkmcnt(0)                                       // 000000009594: BF8CC07F
	buffer_store_dwordx4 v[180:183], v5, s[8:11], 0 offen      // 000000009598: E07C1000 8002B405
	v_add_u32_e32 v5, 0x800, v5                                // 0000000095A0: 680A0AFF 00000800
	buffer_store_dword v1, v4, s[12:15], 0 offen               // 0000000095A8: E0701000 80030104
	s_branch label_8750                                        // 0000000095B0: BF8204E5

00000000000095b4 <label_73BC>:
	s_mul_i32 s75, 0x400, 16                                   // 0000000095B4: 924B90FF 00000400
	s_mul_i32 s56, s78, s75                                    // 0000000095BC: 92384B4E
	s_add_u32 s88, s56, s88                                    // 0000000095C0: 80585838
	s_addc_u32 s89, 0, s89                                     // 0000000095C4: 82595980
	s_mul_i32 s56, s75, s81                                    // 0000000095C8: 9238514B
	s_mov_b32 s90, s56                                         // 0000000095CC: BEDA0038
	s_mul_i32 s56, 0x100, s7                                   // 0000000095D0: 923807FF 00000100
	v_lshrrev_b32_e32 v27, 5, v0                               // 0000000095D8: 20360085
	s_mov_b32 s57, 0x400                                       // 0000000095DC: BEB900FF 00000400
	v_mul_i32_i24_e32 v27, s57, v27                            // 0000000095E4: 0C363639
	v_and_b32_e32 v5, 31, v0                                   // 0000000095E8: 260A009F
	v_lshlrev_b32_e32 v5, 4, v5                                // 0000000095EC: 240A0A84
	v_add_u32_e32 v5, v5, v27                                  // 0000000095F0: 680A3705
	v_add_u32_e64 v5, v5, s56                                  // 0000000095F4: D1340005 00007105
	v_lshlrev_b32_e32 v2, 3, v0                                // 0000000095FC: 24040083
	s_mov_b32 s56, 0x5000                                      // 000000009600: BEB800FF 00005000
	s_mul_i32 s56, s7, s56                                     // 000000009608: 92383807
	v_add_u32_e32 v2, s56, v2                                  // 00000000960C: 68040438
	v_cmp_u_f32_e64 s[36:37], v56, v56                         // 000000009610: D0480024 00027138
	v_add3_u32 v52, v56, v55, 1                                // 000000009618: D1FF0034 02066F38
	v_cndmask_b32_e64 v27, v52, v54, s[36:37]                  // 000000009620: D100001B 00926D34
	v_cmp_u_f32_e64 s[36:37], v57, v57                         // 000000009628: D0480024 00027339
	v_add3_u32 v52, v57, v55, 1                                // 000000009630: D1FF0034 02066F39
	v_cndmask_b32_e64 v28, v52, v54, s[36:37]                  // 000000009638: D100001C 00926D34
	v_perm_b32 v56, v28, v27, s52                              // 000000009640: D1ED0038 00D2371C
	v_cmp_u_f32_e64 s[36:37], v58, v58                         // 000000009648: D0480024 0002753A
	v_add3_u32 v52, v58, v55, 1                                // 000000009650: D1FF0034 02066F3A
	v_cndmask_b32_e64 v27, v52, v54, s[36:37]                  // 000000009658: D100001B 00926D34
	v_cmp_u_f32_e64 s[36:37], v59, v59                         // 000000009660: D0480024 0002773B
	v_add3_u32 v52, v59, v55, 1                                // 000000009668: D1FF0034 02066F3B
	v_cndmask_b32_e64 v28, v52, v54, s[36:37]                  // 000000009670: D100001C 00926D34
	v_perm_b32 v57, v28, v27, s52                              // 000000009678: D1ED0039 00D2371C
	v_cmp_u_f32_e64 s[36:37], v60, v60                         // 000000009680: D0480024 0002793C
	v_add3_u32 v52, v60, v55, 1                                // 000000009688: D1FF0034 02066F3C
	v_cndmask_b32_e64 v27, v52, v54, s[36:37]                  // 000000009690: D100001B 00926D34
	v_cmp_u_f32_e64 s[36:37], v61, v61                         // 000000009698: D0480024 00027B3D
	v_add3_u32 v52, v61, v55, 1                                // 0000000096A0: D1FF0034 02066F3D
	v_cndmask_b32_e64 v28, v52, v54, s[36:37]                  // 0000000096A8: D100001C 00926D34
	v_perm_b32 v58, v28, v27, s52                              // 0000000096B0: D1ED003A 00D2371C
	v_cmp_u_f32_e64 s[36:37], v62, v62                         // 0000000096B8: D0480024 00027D3E
	v_add3_u32 v52, v62, v55, 1                                // 0000000096C0: D1FF0034 02066F3E
	v_cndmask_b32_e64 v27, v52, v54, s[36:37]                  // 0000000096C8: D100001B 00926D34
	v_cmp_u_f32_e64 s[36:37], v63, v63                         // 0000000096D0: D0480024 00027F3F
	v_add3_u32 v52, v63, v55, 1                                // 0000000096D8: D1FF0034 02066F3F
	v_cndmask_b32_e64 v28, v52, v54, s[36:37]                  // 0000000096E0: D100001C 00926D34
	v_perm_b32 v59, v28, v27, s52                              // 0000000096E8: D1ED003B 00D2371C
	v_cmp_u_f32_e64 s[36:37], v64, v64                         // 0000000096F0: D0480024 00028140
	v_add3_u32 v52, v64, v55, 1                                // 0000000096F8: D1FF0034 02066F40
	v_cndmask_b32_e64 v27, v52, v54, s[36:37]                  // 000000009700: D100001B 00926D34
	v_cmp_u_f32_e64 s[36:37], v65, v65                         // 000000009708: D0480024 00028341
	v_add3_u32 v52, v65, v55, 1                                // 000000009710: D1FF0034 02066F41
	v_cndmask_b32_e64 v28, v52, v54, s[36:37]                  // 000000009718: D100001C 00926D34
	v_perm_b32 v60, v28, v27, s52                              // 000000009720: D1ED003C 00D2371C
	v_cmp_u_f32_e64 s[36:37], v66, v66                         // 000000009728: D0480024 00028542
	v_add3_u32 v52, v66, v55, 1                                // 000000009730: D1FF0034 02066F42
	v_cndmask_b32_e64 v27, v52, v54, s[36:37]                  // 000000009738: D100001B 00926D34
	v_cmp_u_f32_e64 s[36:37], v67, v67                         // 000000009740: D0480024 00028743
	v_add3_u32 v52, v67, v55, 1                                // 000000009748: D1FF0034 02066F43
	v_cndmask_b32_e64 v28, v52, v54, s[36:37]                  // 000000009750: D100001C 00926D34
	v_perm_b32 v61, v28, v27, s52                              // 000000009758: D1ED003D 00D2371C
	v_cmp_u_f32_e64 s[36:37], v68, v68                         // 000000009760: D0480024 00028944
	v_add3_u32 v52, v68, v55, 1                                // 000000009768: D1FF0034 02066F44
	v_cndmask_b32_e64 v27, v52, v54, s[36:37]                  // 000000009770: D100001B 00926D34
	v_cmp_u_f32_e64 s[36:37], v69, v69                         // 000000009778: D0480024 00028B45
	v_add3_u32 v52, v69, v55, 1                                // 000000009780: D1FF0034 02066F45
	v_cndmask_b32_e64 v28, v52, v54, s[36:37]                  // 000000009788: D100001C 00926D34
	v_perm_b32 v62, v28, v27, s52                              // 000000009790: D1ED003E 00D2371C
	v_cmp_u_f32_e64 s[36:37], v70, v70                         // 000000009798: D0480024 00028D46
	v_add3_u32 v52, v70, v55, 1                                // 0000000097A0: D1FF0034 02066F46
	v_cndmask_b32_e64 v27, v52, v54, s[36:37]                  // 0000000097A8: D100001B 00926D34
	v_cmp_u_f32_e64 s[36:37], v71, v71                         // 0000000097B0: D0480024 00028F47
	v_add3_u32 v52, v71, v55, 1                                // 0000000097B8: D1FF0034 02066F47
	v_cndmask_b32_e64 v28, v52, v54, s[36:37]                  // 0000000097C0: D100001C 00926D34
	v_perm_b32 v63, v28, v27, s52                              // 0000000097C8: D1ED003F 00D2371C
	v_cmp_u_f32_e64 s[36:37], v72, v72                         // 0000000097D0: D0480024 00029148
	v_add3_u32 v52, v72, v55, 1                                // 0000000097D8: D1FF0034 02066F48
	v_cndmask_b32_e64 v27, v52, v54, s[36:37]                  // 0000000097E0: D100001B 00926D34
	v_cmp_u_f32_e64 s[36:37], v73, v73                         // 0000000097E8: D0480024 00029349
	v_add3_u32 v52, v73, v55, 1                                // 0000000097F0: D1FF0034 02066F49
	v_cndmask_b32_e64 v28, v52, v54, s[36:37]                  // 0000000097F8: D100001C 00926D34
	v_perm_b32 v64, v28, v27, s52                              // 000000009800: D1ED0040 00D2371C
	v_cmp_u_f32_e64 s[36:37], v74, v74                         // 000000009808: D0480024 0002954A
	v_add3_u32 v52, v74, v55, 1                                // 000000009810: D1FF0034 02066F4A
	v_cndmask_b32_e64 v27, v52, v54, s[36:37]                  // 000000009818: D100001B 00926D34
	v_cmp_u_f32_e64 s[36:37], v75, v75                         // 000000009820: D0480024 0002974B
	v_add3_u32 v52, v75, v55, 1                                // 000000009828: D1FF0034 02066F4B
	v_cndmask_b32_e64 v28, v52, v54, s[36:37]                  // 000000009830: D100001C 00926D34
	v_perm_b32 v65, v28, v27, s52                              // 000000009838: D1ED0041 00D2371C
	v_cmp_u_f32_e64 s[36:37], v76, v76                         // 000000009840: D0480024 0002994C
	v_add3_u32 v52, v76, v55, 1                                // 000000009848: D1FF0034 02066F4C
	v_cndmask_b32_e64 v27, v52, v54, s[36:37]                  // 000000009850: D100001B 00926D34
	v_cmp_u_f32_e64 s[36:37], v77, v77                         // 000000009858: D0480024 00029B4D
	v_add3_u32 v52, v77, v55, 1                                // 000000009860: D1FF0034 02066F4D
	v_cndmask_b32_e64 v28, v52, v54, s[36:37]                  // 000000009868: D100001C 00926D34
	v_perm_b32 v66, v28, v27, s52                              // 000000009870: D1ED0042 00D2371C
	v_cmp_u_f32_e64 s[36:37], v78, v78                         // 000000009878: D0480024 00029D4E
	v_add3_u32 v52, v78, v55, 1                                // 000000009880: D1FF0034 02066F4E
	v_cndmask_b32_e64 v27, v52, v54, s[36:37]                  // 000000009888: D100001B 00926D34
	v_cmp_u_f32_e64 s[36:37], v79, v79                         // 000000009890: D0480024 00029F4F
	v_add3_u32 v52, v79, v55, 1                                // 000000009898: D1FF0034 02066F4F
	v_cndmask_b32_e64 v28, v52, v54, s[36:37]                  // 0000000098A0: D100001C 00926D34
	v_perm_b32 v67, v28, v27, s52                              // 0000000098A8: D1ED0043 00D2371C
	v_cmp_u_f32_e64 s[36:37], v80, v80                         // 0000000098B0: D0480024 0002A150
	v_add3_u32 v52, v80, v55, 1                                // 0000000098B8: D1FF0034 02066F50
	v_cndmask_b32_e64 v27, v52, v54, s[36:37]                  // 0000000098C0: D100001B 00926D34
	v_cmp_u_f32_e64 s[36:37], v81, v81                         // 0000000098C8: D0480024 0002A351
	v_add3_u32 v52, v81, v55, 1                                // 0000000098D0: D1FF0034 02066F51
	v_cndmask_b32_e64 v28, v52, v54, s[36:37]                  // 0000000098D8: D100001C 00926D34
	v_perm_b32 v68, v28, v27, s52                              // 0000000098E0: D1ED0044 00D2371C
	v_cmp_u_f32_e64 s[36:37], v82, v82                         // 0000000098E8: D0480024 0002A552
	v_add3_u32 v52, v82, v55, 1                                // 0000000098F0: D1FF0034 02066F52
	v_cndmask_b32_e64 v27, v52, v54, s[36:37]                  // 0000000098F8: D100001B 00926D34
	v_cmp_u_f32_e64 s[36:37], v83, v83                         // 000000009900: D0480024 0002A753
	v_add3_u32 v52, v83, v55, 1                                // 000000009908: D1FF0034 02066F53
	v_cndmask_b32_e64 v28, v52, v54, s[36:37]                  // 000000009910: D100001C 00926D34
	v_perm_b32 v69, v28, v27, s52                              // 000000009918: D1ED0045 00D2371C
	v_cmp_u_f32_e64 s[36:37], v84, v84                         // 000000009920: D0480024 0002A954
	v_add3_u32 v52, v84, v55, 1                                // 000000009928: D1FF0034 02066F54
	v_cndmask_b32_e64 v27, v52, v54, s[36:37]                  // 000000009930: D100001B 00926D34
	v_cmp_u_f32_e64 s[36:37], v85, v85                         // 000000009938: D0480024 0002AB55
	v_add3_u32 v52, v85, v55, 1                                // 000000009940: D1FF0034 02066F55
	v_cndmask_b32_e64 v28, v52, v54, s[36:37]                  // 000000009948: D100001C 00926D34
	v_perm_b32 v70, v28, v27, s52                              // 000000009950: D1ED0046 00D2371C
	v_cmp_u_f32_e64 s[36:37], v86, v86                         // 000000009958: D0480024 0002AD56
	v_add3_u32 v52, v86, v55, 1                                // 000000009960: D1FF0034 02066F56
	v_cndmask_b32_e64 v27, v52, v54, s[36:37]                  // 000000009968: D100001B 00926D34
	v_cmp_u_f32_e64 s[36:37], v87, v87                         // 000000009970: D0480024 0002AF57
	v_add3_u32 v52, v87, v55, 1                                // 000000009978: D1FF0034 02066F57
	v_cndmask_b32_e64 v28, v52, v54, s[36:37]                  // 000000009980: D100001C 00926D34
	v_perm_b32 v71, v28, v27, s52                              // 000000009988: D1ED0047 00D2371C
	ds_write_b64 v2, v[56:57]                                  // 000000009990: D89A0000 00003802
	s_mov_b32 s56, 0x208                                       // 000000009998: BEB800FF 00000208
	v_add_u32_e32 v2, s56, v2                                  // 0000000099A0: 68040438
	ds_write_b64 v2, v[58:59]                                  // 0000000099A4: D89A0000 00003A02
	s_mov_b32 s56, 0x208                                       // 0000000099AC: BEB800FF 00000208
	v_add_u32_e32 v2, s56, v2                                  // 0000000099B4: 68040438
	ds_write_b64 v2, v[60:61]                                  // 0000000099B8: D89A0000 00003C02
	s_mov_b32 s56, 0x208                                       // 0000000099C0: BEB800FF 00000208
	v_add_u32_e32 v2, s56, v2                                  // 0000000099C8: 68040438
	ds_write_b64 v2, v[62:63]                                  // 0000000099CC: D89A0000 00003E02
	s_mov_b32 s56, 0x208                                       // 0000000099D4: BEB800FF 00000208
	v_add_u32_e32 v2, s56, v2                                  // 0000000099DC: 68040438
	ds_write_b64 v2, v[64:65]                                  // 0000000099E0: D89A0000 00004002
	s_mov_b32 s56, 0x208                                       // 0000000099E8: BEB800FF 00000208
	v_add_u32_e32 v2, s56, v2                                  // 0000000099F0: 68040438
	ds_write_b64 v2, v[66:67]                                  // 0000000099F4: D89A0000 00004202
	s_mov_b32 s56, 0x208                                       // 0000000099FC: BEB800FF 00000208
	v_add_u32_e32 v2, s56, v2                                  // 000000009A04: 68040438
	ds_write_b64 v2, v[68:69]                                  // 000000009A08: D89A0000 00004402
	s_mov_b32 s56, 0x208                                       // 000000009A10: BEB800FF 00000208
	v_add_u32_e32 v2, s56, v2                                  // 000000009A18: 68040438
	ds_write_b64 v2, v[70:71]                                  // 000000009A1C: D89A0000 00004602
	s_mov_b32 s56, 0x208                                       // 000000009A24: BEB800FF 00000208
	v_add_u32_e32 v2, s56, v2                                  // 000000009A2C: 68040438
	v_cmp_u_f32_e64 s[36:37], v88, v88                         // 000000009A30: D0480024 0002B158
	v_add3_u32 v52, v88, v55, 1                                // 000000009A38: D1FF0034 02066F58
	v_cndmask_b32_e64 v27, v52, v54, s[36:37]                  // 000000009A40: D100001B 00926D34
	v_cmp_u_f32_e64 s[36:37], v89, v89                         // 000000009A48: D0480024 0002B359
	v_add3_u32 v52, v89, v55, 1                                // 000000009A50: D1FF0034 02066F59
	v_cndmask_b32_e64 v28, v52, v54, s[36:37]                  // 000000009A58: D100001C 00926D34
	v_perm_b32 v56, v28, v27, s52                              // 000000009A60: D1ED0038 00D2371C
	v_cmp_u_f32_e64 s[36:37], v90, v90                         // 000000009A68: D0480024 0002B55A
	v_add3_u32 v52, v90, v55, 1                                // 000000009A70: D1FF0034 02066F5A
	v_cndmask_b32_e64 v27, v52, v54, s[36:37]                  // 000000009A78: D100001B 00926D34
	v_cmp_u_f32_e64 s[36:37], v91, v91                         // 000000009A80: D0480024 0002B75B
	v_add3_u32 v52, v91, v55, 1                                // 000000009A88: D1FF0034 02066F5B
	v_cndmask_b32_e64 v28, v52, v54, s[36:37]                  // 000000009A90: D100001C 00926D34
	v_perm_b32 v57, v28, v27, s52                              // 000000009A98: D1ED0039 00D2371C
	v_cmp_u_f32_e64 s[36:37], v92, v92                         // 000000009AA0: D0480024 0002B95C
	v_add3_u32 v52, v92, v55, 1                                // 000000009AA8: D1FF0034 02066F5C
	v_cndmask_b32_e64 v27, v52, v54, s[36:37]                  // 000000009AB0: D100001B 00926D34
	v_cmp_u_f32_e64 s[36:37], v93, v93                         // 000000009AB8: D0480024 0002BB5D
	v_add3_u32 v52, v93, v55, 1                                // 000000009AC0: D1FF0034 02066F5D
	v_cndmask_b32_e64 v28, v52, v54, s[36:37]                  // 000000009AC8: D100001C 00926D34
	v_perm_b32 v58, v28, v27, s52                              // 000000009AD0: D1ED003A 00D2371C
	v_cmp_u_f32_e64 s[36:37], v94, v94                         // 000000009AD8: D0480024 0002BD5E
	v_add3_u32 v52, v94, v55, 1                                // 000000009AE0: D1FF0034 02066F5E
	v_cndmask_b32_e64 v27, v52, v54, s[36:37]                  // 000000009AE8: D100001B 00926D34
	v_cmp_u_f32_e64 s[36:37], v95, v95                         // 000000009AF0: D0480024 0002BF5F
	v_add3_u32 v52, v95, v55, 1                                // 000000009AF8: D1FF0034 02066F5F
	v_cndmask_b32_e64 v28, v52, v54, s[36:37]                  // 000000009B00: D100001C 00926D34
	v_perm_b32 v59, v28, v27, s52                              // 000000009B08: D1ED003B 00D2371C
	v_cmp_u_f32_e64 s[36:37], v96, v96                         // 000000009B10: D0480024 0002C160
	v_add3_u32 v52, v96, v55, 1                                // 000000009B18: D1FF0034 02066F60
	v_cndmask_b32_e64 v27, v52, v54, s[36:37]                  // 000000009B20: D100001B 00926D34
	v_cmp_u_f32_e64 s[36:37], v97, v97                         // 000000009B28: D0480024 0002C361
	v_add3_u32 v52, v97, v55, 1                                // 000000009B30: D1FF0034 02066F61
	v_cndmask_b32_e64 v28, v52, v54, s[36:37]                  // 000000009B38: D100001C 00926D34
	v_perm_b32 v60, v28, v27, s52                              // 000000009B40: D1ED003C 00D2371C
	v_cmp_u_f32_e64 s[36:37], v98, v98                         // 000000009B48: D0480024 0002C562
	v_add3_u32 v52, v98, v55, 1                                // 000000009B50: D1FF0034 02066F62
	v_cndmask_b32_e64 v27, v52, v54, s[36:37]                  // 000000009B58: D100001B 00926D34
	v_cmp_u_f32_e64 s[36:37], v99, v99                         // 000000009B60: D0480024 0002C763
	v_add3_u32 v52, v99, v55, 1                                // 000000009B68: D1FF0034 02066F63
	v_cndmask_b32_e64 v28, v52, v54, s[36:37]                  // 000000009B70: D100001C 00926D34
	v_perm_b32 v61, v28, v27, s52                              // 000000009B78: D1ED003D 00D2371C
	v_cmp_u_f32_e64 s[36:37], v100, v100                       // 000000009B80: D0480024 0002C964
	v_add3_u32 v52, v100, v55, 1                               // 000000009B88: D1FF0034 02066F64
	v_cndmask_b32_e64 v27, v52, v54, s[36:37]                  // 000000009B90: D100001B 00926D34
	v_cmp_u_f32_e64 s[36:37], v101, v101                       // 000000009B98: D0480024 0002CB65
	v_add3_u32 v52, v101, v55, 1                               // 000000009BA0: D1FF0034 02066F65
	v_cndmask_b32_e64 v28, v52, v54, s[36:37]                  // 000000009BA8: D100001C 00926D34
	v_perm_b32 v62, v28, v27, s52                              // 000000009BB0: D1ED003E 00D2371C
	v_cmp_u_f32_e64 s[36:37], v102, v102                       // 000000009BB8: D0480024 0002CD66
	v_add3_u32 v52, v102, v55, 1                               // 000000009BC0: D1FF0034 02066F66
	v_cndmask_b32_e64 v27, v52, v54, s[36:37]                  // 000000009BC8: D100001B 00926D34
	v_cmp_u_f32_e64 s[36:37], v103, v103                       // 000000009BD0: D0480024 0002CF67
	v_add3_u32 v52, v103, v55, 1                               // 000000009BD8: D1FF0034 02066F67
	v_cndmask_b32_e64 v28, v52, v54, s[36:37]                  // 000000009BE0: D100001C 00926D34
	v_perm_b32 v63, v28, v27, s52                              // 000000009BE8: D1ED003F 00D2371C
	v_cmp_u_f32_e64 s[36:37], v104, v104                       // 000000009BF0: D0480024 0002D168
	v_add3_u32 v52, v104, v55, 1                               // 000000009BF8: D1FF0034 02066F68
	v_cndmask_b32_e64 v27, v52, v54, s[36:37]                  // 000000009C00: D100001B 00926D34
	v_cmp_u_f32_e64 s[36:37], v105, v105                       // 000000009C08: D0480024 0002D369
	v_add3_u32 v52, v105, v55, 1                               // 000000009C10: D1FF0034 02066F69
	v_cndmask_b32_e64 v28, v52, v54, s[36:37]                  // 000000009C18: D100001C 00926D34
	v_perm_b32 v64, v28, v27, s52                              // 000000009C20: D1ED0040 00D2371C
	v_cmp_u_f32_e64 s[36:37], v106, v106                       // 000000009C28: D0480024 0002D56A
	v_add3_u32 v52, v106, v55, 1                               // 000000009C30: D1FF0034 02066F6A
	v_cndmask_b32_e64 v27, v52, v54, s[36:37]                  // 000000009C38: D100001B 00926D34
	v_cmp_u_f32_e64 s[36:37], v107, v107                       // 000000009C40: D0480024 0002D76B
	v_add3_u32 v52, v107, v55, 1                               // 000000009C48: D1FF0034 02066F6B
	v_cndmask_b32_e64 v28, v52, v54, s[36:37]                  // 000000009C50: D100001C 00926D34
	v_perm_b32 v65, v28, v27, s52                              // 000000009C58: D1ED0041 00D2371C
	v_cmp_u_f32_e64 s[36:37], v108, v108                       // 000000009C60: D0480024 0002D96C
	v_add3_u32 v52, v108, v55, 1                               // 000000009C68: D1FF0034 02066F6C
	v_cndmask_b32_e64 v27, v52, v54, s[36:37]                  // 000000009C70: D100001B 00926D34
	v_cmp_u_f32_e64 s[36:37], v109, v109                       // 000000009C78: D0480024 0002DB6D
	v_add3_u32 v52, v109, v55, 1                               // 000000009C80: D1FF0034 02066F6D
	v_cndmask_b32_e64 v28, v52, v54, s[36:37]                  // 000000009C88: D100001C 00926D34
	v_perm_b32 v66, v28, v27, s52                              // 000000009C90: D1ED0042 00D2371C
	v_cmp_u_f32_e64 s[36:37], v110, v110                       // 000000009C98: D0480024 0002DD6E
	v_add3_u32 v52, v110, v55, 1                               // 000000009CA0: D1FF0034 02066F6E
	v_cndmask_b32_e64 v27, v52, v54, s[36:37]                  // 000000009CA8: D100001B 00926D34
	v_cmp_u_f32_e64 s[36:37], v111, v111                       // 000000009CB0: D0480024 0002DF6F
	v_add3_u32 v52, v111, v55, 1                               // 000000009CB8: D1FF0034 02066F6F
	v_cndmask_b32_e64 v28, v52, v54, s[36:37]                  // 000000009CC0: D100001C 00926D34
	v_perm_b32 v67, v28, v27, s52                              // 000000009CC8: D1ED0043 00D2371C
	v_cmp_u_f32_e64 s[36:37], v112, v112                       // 000000009CD0: D0480024 0002E170
	v_add3_u32 v52, v112, v55, 1                               // 000000009CD8: D1FF0034 02066F70
	v_cndmask_b32_e64 v27, v52, v54, s[36:37]                  // 000000009CE0: D100001B 00926D34
	v_cmp_u_f32_e64 s[36:37], v113, v113                       // 000000009CE8: D0480024 0002E371
	v_add3_u32 v52, v113, v55, 1                               // 000000009CF0: D1FF0034 02066F71
	v_cndmask_b32_e64 v28, v52, v54, s[36:37]                  // 000000009CF8: D100001C 00926D34
	v_perm_b32 v68, v28, v27, s52                              // 000000009D00: D1ED0044 00D2371C
	v_cmp_u_f32_e64 s[36:37], v114, v114                       // 000000009D08: D0480024 0002E572
	v_add3_u32 v52, v114, v55, 1                               // 000000009D10: D1FF0034 02066F72
	v_cndmask_b32_e64 v27, v52, v54, s[36:37]                  // 000000009D18: D100001B 00926D34
	v_cmp_u_f32_e64 s[36:37], v115, v115                       // 000000009D20: D0480024 0002E773
	v_add3_u32 v52, v115, v55, 1                               // 000000009D28: D1FF0034 02066F73
	v_cndmask_b32_e64 v28, v52, v54, s[36:37]                  // 000000009D30: D100001C 00926D34
	v_perm_b32 v69, v28, v27, s52                              // 000000009D38: D1ED0045 00D2371C
	v_cmp_u_f32_e64 s[36:37], v116, v116                       // 000000009D40: D0480024 0002E974
	v_add3_u32 v52, v116, v55, 1                               // 000000009D48: D1FF0034 02066F74
	v_cndmask_b32_e64 v27, v52, v54, s[36:37]                  // 000000009D50: D100001B 00926D34
	v_cmp_u_f32_e64 s[36:37], v117, v117                       // 000000009D58: D0480024 0002EB75
	v_add3_u32 v52, v117, v55, 1                               // 000000009D60: D1FF0034 02066F75
	v_cndmask_b32_e64 v28, v52, v54, s[36:37]                  // 000000009D68: D100001C 00926D34
	v_perm_b32 v70, v28, v27, s52                              // 000000009D70: D1ED0046 00D2371C
	v_cmp_u_f32_e64 s[36:37], v118, v118                       // 000000009D78: D0480024 0002ED76
	v_add3_u32 v52, v118, v55, 1                               // 000000009D80: D1FF0034 02066F76
	v_cndmask_b32_e64 v27, v52, v54, s[36:37]                  // 000000009D88: D100001B 00926D34
	v_cmp_u_f32_e64 s[36:37], v119, v119                       // 000000009D90: D0480024 0002EF77
	v_add3_u32 v52, v119, v55, 1                               // 000000009D98: D1FF0034 02066F77
	v_cndmask_b32_e64 v28, v52, v54, s[36:37]                  // 000000009DA0: D100001C 00926D34
	v_perm_b32 v71, v28, v27, s52                              // 000000009DA8: D1ED0047 00D2371C
	ds_write_b64 v2, v[56:57]                                  // 000000009DB0: D89A0000 00003802
	s_mov_b32 s56, 0x208                                       // 000000009DB8: BEB800FF 00000208
	v_add_u32_e32 v2, s56, v2                                  // 000000009DC0: 68040438
	ds_write_b64 v2, v[58:59]                                  // 000000009DC4: D89A0000 00003A02
	s_mov_b32 s56, 0x208                                       // 000000009DCC: BEB800FF 00000208
	v_add_u32_e32 v2, s56, v2                                  // 000000009DD4: 68040438
	ds_write_b64 v2, v[60:61]                                  // 000000009DD8: D89A0000 00003C02
	s_mov_b32 s56, 0x208                                       // 000000009DE0: BEB800FF 00000208
	v_add_u32_e32 v2, s56, v2                                  // 000000009DE8: 68040438
	ds_write_b64 v2, v[62:63]                                  // 000000009DEC: D89A0000 00003E02
	s_mov_b32 s56, 0x208                                       // 000000009DF4: BEB800FF 00000208
	v_add_u32_e32 v2, s56, v2                                  // 000000009DFC: 68040438
	ds_write_b64 v2, v[64:65]                                  // 000000009E00: D89A0000 00004002
	s_mov_b32 s56, 0x208                                       // 000000009E08: BEB800FF 00000208
	v_add_u32_e32 v2, s56, v2                                  // 000000009E10: 68040438
	ds_write_b64 v2, v[66:67]                                  // 000000009E14: D89A0000 00004202
	s_mov_b32 s56, 0x208                                       // 000000009E1C: BEB800FF 00000208
	v_add_u32_e32 v2, s56, v2                                  // 000000009E24: 68040438
	ds_write_b64 v2, v[68:69]                                  // 000000009E28: D89A0000 00004402
	s_mov_b32 s56, 0x208                                       // 000000009E30: BEB800FF 00000208
	v_add_u32_e32 v2, s56, v2                                  // 000000009E38: 68040438
	ds_write_b64 v2, v[70:71]                                  // 000000009E3C: D89A0000 00004602
	s_mov_b32 s56, 0x208                                       // 000000009E44: BEB800FF 00000208
	v_add_u32_e32 v2, s56, v2                                  // 000000009E4C: 68040438
	v_cmp_u_f32_e64 s[36:37], v120, v120                       // 000000009E50: D0480024 0002F178
	v_add3_u32 v52, v120, v55, 1                               // 000000009E58: D1FF0034 02066F78
	v_cndmask_b32_e64 v27, v52, v54, s[36:37]                  // 000000009E60: D100001B 00926D34
	v_cmp_u_f32_e64 s[36:37], v121, v121                       // 000000009E68: D0480024 0002F379
	v_add3_u32 v52, v121, v55, 1                               // 000000009E70: D1FF0034 02066F79
	v_cndmask_b32_e64 v28, v52, v54, s[36:37]                  // 000000009E78: D100001C 00926D34
	v_perm_b32 v56, v28, v27, s52                              // 000000009E80: D1ED0038 00D2371C
	v_cmp_u_f32_e64 s[36:37], v122, v122                       // 000000009E88: D0480024 0002F57A
	v_add3_u32 v52, v122, v55, 1                               // 000000009E90: D1FF0034 02066F7A
	v_cndmask_b32_e64 v27, v52, v54, s[36:37]                  // 000000009E98: D100001B 00926D34
	v_cmp_u_f32_e64 s[36:37], v123, v123                       // 000000009EA0: D0480024 0002F77B
	v_add3_u32 v52, v123, v55, 1                               // 000000009EA8: D1FF0034 02066F7B
	v_cndmask_b32_e64 v28, v52, v54, s[36:37]                  // 000000009EB0: D100001C 00926D34
	v_perm_b32 v57, v28, v27, s52                              // 000000009EB8: D1ED0039 00D2371C
	v_cmp_u_f32_e64 s[36:37], v124, v124                       // 000000009EC0: D0480024 0002F97C
	v_add3_u32 v52, v124, v55, 1                               // 000000009EC8: D1FF0034 02066F7C
	v_cndmask_b32_e64 v27, v52, v54, s[36:37]                  // 000000009ED0: D100001B 00926D34
	v_cmp_u_f32_e64 s[36:37], v125, v125                       // 000000009ED8: D0480024 0002FB7D
	v_add3_u32 v52, v125, v55, 1                               // 000000009EE0: D1FF0034 02066F7D
	v_cndmask_b32_e64 v28, v52, v54, s[36:37]                  // 000000009EE8: D100001C 00926D34
	v_perm_b32 v58, v28, v27, s52                              // 000000009EF0: D1ED003A 00D2371C
	v_cmp_u_f32_e64 s[36:37], v126, v126                       // 000000009EF8: D0480024 0002FD7E
	v_add3_u32 v52, v126, v55, 1                               // 000000009F00: D1FF0034 02066F7E
	v_cndmask_b32_e64 v27, v52, v54, s[36:37]                  // 000000009F08: D100001B 00926D34
	v_cmp_u_f32_e64 s[36:37], v127, v127                       // 000000009F10: D0480024 0002FF7F
	v_add3_u32 v52, v127, v55, 1                               // 000000009F18: D1FF0034 02066F7F
	v_cndmask_b32_e64 v28, v52, v54, s[36:37]                  // 000000009F20: D100001C 00926D34
	v_perm_b32 v59, v28, v27, s52                              // 000000009F28: D1ED003B 00D2371C
	v_cmp_u_f32_e64 s[36:37], v128, v128                       // 000000009F30: D0480024 00030180
	v_add3_u32 v52, v128, v55, 1                               // 000000009F38: D1FF0034 02066F80
	v_cndmask_b32_e64 v27, v52, v54, s[36:37]                  // 000000009F40: D100001B 00926D34
	v_cmp_u_f32_e64 s[36:37], v129, v129                       // 000000009F48: D0480024 00030381
	v_add3_u32 v52, v129, v55, 1                               // 000000009F50: D1FF0034 02066F81
	v_cndmask_b32_e64 v28, v52, v54, s[36:37]                  // 000000009F58: D100001C 00926D34
	v_perm_b32 v60, v28, v27, s52                              // 000000009F60: D1ED003C 00D2371C
	v_cmp_u_f32_e64 s[36:37], v130, v130                       // 000000009F68: D0480024 00030582
	v_add3_u32 v52, v130, v55, 1                               // 000000009F70: D1FF0034 02066F82
	v_cndmask_b32_e64 v27, v52, v54, s[36:37]                  // 000000009F78: D100001B 00926D34
	v_cmp_u_f32_e64 s[36:37], v131, v131                       // 000000009F80: D0480024 00030783
	v_add3_u32 v52, v131, v55, 1                               // 000000009F88: D1FF0034 02066F83
	v_cndmask_b32_e64 v28, v52, v54, s[36:37]                  // 000000009F90: D100001C 00926D34
	v_perm_b32 v61, v28, v27, s52                              // 000000009F98: D1ED003D 00D2371C
	v_cmp_u_f32_e64 s[36:37], v132, v132                       // 000000009FA0: D0480024 00030984
	v_add3_u32 v52, v132, v55, 1                               // 000000009FA8: D1FF0034 02066F84
	v_cndmask_b32_e64 v27, v52, v54, s[36:37]                  // 000000009FB0: D100001B 00926D34
	v_cmp_u_f32_e64 s[36:37], v133, v133                       // 000000009FB8: D0480024 00030B85
	v_add3_u32 v52, v133, v55, 1                               // 000000009FC0: D1FF0034 02066F85
	v_cndmask_b32_e64 v28, v52, v54, s[36:37]                  // 000000009FC8: D100001C 00926D34
	v_perm_b32 v62, v28, v27, s52                              // 000000009FD0: D1ED003E 00D2371C
	v_cmp_u_f32_e64 s[36:37], v134, v134                       // 000000009FD8: D0480024 00030D86
	v_add3_u32 v52, v134, v55, 1                               // 000000009FE0: D1FF0034 02066F86
	v_cndmask_b32_e64 v27, v52, v54, s[36:37]                  // 000000009FE8: D100001B 00926D34
	v_cmp_u_f32_e64 s[36:37], v135, v135                       // 000000009FF0: D0480024 00030F87
	v_add3_u32 v52, v135, v55, 1                               // 000000009FF8: D1FF0034 02066F87
	v_cndmask_b32_e64 v28, v52, v54, s[36:37]                  // 00000000A000: D100001C 00926D34
	v_perm_b32 v63, v28, v27, s52                              // 00000000A008: D1ED003F 00D2371C
	v_cmp_u_f32_e64 s[36:37], v136, v136                       // 00000000A010: D0480024 00031188
	v_add3_u32 v52, v136, v55, 1                               // 00000000A018: D1FF0034 02066F88
	v_cndmask_b32_e64 v27, v52, v54, s[36:37]                  // 00000000A020: D100001B 00926D34
	v_cmp_u_f32_e64 s[36:37], v137, v137                       // 00000000A028: D0480024 00031389
	v_add3_u32 v52, v137, v55, 1                               // 00000000A030: D1FF0034 02066F89
	v_cndmask_b32_e64 v28, v52, v54, s[36:37]                  // 00000000A038: D100001C 00926D34
	v_perm_b32 v64, v28, v27, s52                              // 00000000A040: D1ED0040 00D2371C
	v_cmp_u_f32_e64 s[36:37], v138, v138                       // 00000000A048: D0480024 0003158A
	v_add3_u32 v52, v138, v55, 1                               // 00000000A050: D1FF0034 02066F8A
	v_cndmask_b32_e64 v27, v52, v54, s[36:37]                  // 00000000A058: D100001B 00926D34
	v_cmp_u_f32_e64 s[36:37], v139, v139                       // 00000000A060: D0480024 0003178B
	v_add3_u32 v52, v139, v55, 1                               // 00000000A068: D1FF0034 02066F8B
	v_cndmask_b32_e64 v28, v52, v54, s[36:37]                  // 00000000A070: D100001C 00926D34
	v_perm_b32 v65, v28, v27, s52                              // 00000000A078: D1ED0041 00D2371C
	v_cmp_u_f32_e64 s[36:37], v140, v140                       // 00000000A080: D0480024 0003198C
	v_add3_u32 v52, v140, v55, 1                               // 00000000A088: D1FF0034 02066F8C
	v_cndmask_b32_e64 v27, v52, v54, s[36:37]                  // 00000000A090: D100001B 00926D34
	v_cmp_u_f32_e64 s[36:37], v141, v141                       // 00000000A098: D0480024 00031B8D
	v_add3_u32 v52, v141, v55, 1                               // 00000000A0A0: D1FF0034 02066F8D
	v_cndmask_b32_e64 v28, v52, v54, s[36:37]                  // 00000000A0A8: D100001C 00926D34
	v_perm_b32 v66, v28, v27, s52                              // 00000000A0B0: D1ED0042 00D2371C
	v_cmp_u_f32_e64 s[36:37], v142, v142                       // 00000000A0B8: D0480024 00031D8E
	v_add3_u32 v52, v142, v55, 1                               // 00000000A0C0: D1FF0034 02066F8E
	v_cndmask_b32_e64 v27, v52, v54, s[36:37]                  // 00000000A0C8: D100001B 00926D34
	v_cmp_u_f32_e64 s[36:37], v143, v143                       // 00000000A0D0: D0480024 00031F8F
	v_add3_u32 v52, v143, v55, 1                               // 00000000A0D8: D1FF0034 02066F8F
	v_cndmask_b32_e64 v28, v52, v54, s[36:37]                  // 00000000A0E0: D100001C 00926D34
	v_perm_b32 v67, v28, v27, s52                              // 00000000A0E8: D1ED0043 00D2371C
	v_cmp_u_f32_e64 s[36:37], v144, v144                       // 00000000A0F0: D0480024 00032190
	v_add3_u32 v52, v144, v55, 1                               // 00000000A0F8: D1FF0034 02066F90
	v_cndmask_b32_e64 v27, v52, v54, s[36:37]                  // 00000000A100: D100001B 00926D34
	v_cmp_u_f32_e64 s[36:37], v145, v145                       // 00000000A108: D0480024 00032391
	v_add3_u32 v52, v145, v55, 1                               // 00000000A110: D1FF0034 02066F91
	v_cndmask_b32_e64 v28, v52, v54, s[36:37]                  // 00000000A118: D100001C 00926D34
	v_perm_b32 v68, v28, v27, s52                              // 00000000A120: D1ED0044 00D2371C
	v_cmp_u_f32_e64 s[36:37], v146, v146                       // 00000000A128: D0480024 00032592
	v_add3_u32 v52, v146, v55, 1                               // 00000000A130: D1FF0034 02066F92
	v_cndmask_b32_e64 v27, v52, v54, s[36:37]                  // 00000000A138: D100001B 00926D34
	v_cmp_u_f32_e64 s[36:37], v147, v147                       // 00000000A140: D0480024 00032793
	v_add3_u32 v52, v147, v55, 1                               // 00000000A148: D1FF0034 02066F93
	v_cndmask_b32_e64 v28, v52, v54, s[36:37]                  // 00000000A150: D100001C 00926D34
	v_perm_b32 v69, v28, v27, s52                              // 00000000A158: D1ED0045 00D2371C
	v_cmp_u_f32_e64 s[36:37], v148, v148                       // 00000000A160: D0480024 00032994
	v_add3_u32 v52, v148, v55, 1                               // 00000000A168: D1FF0034 02066F94
	v_cndmask_b32_e64 v27, v52, v54, s[36:37]                  // 00000000A170: D100001B 00926D34
	v_cmp_u_f32_e64 s[36:37], v149, v149                       // 00000000A178: D0480024 00032B95
	v_add3_u32 v52, v149, v55, 1                               // 00000000A180: D1FF0034 02066F95
	v_cndmask_b32_e64 v28, v52, v54, s[36:37]                  // 00000000A188: D100001C 00926D34
	v_perm_b32 v70, v28, v27, s52                              // 00000000A190: D1ED0046 00D2371C
	v_cmp_u_f32_e64 s[36:37], v150, v150                       // 00000000A198: D0480024 00032D96
	v_add3_u32 v52, v150, v55, 1                               // 00000000A1A0: D1FF0034 02066F96
	v_cndmask_b32_e64 v27, v52, v54, s[36:37]                  // 00000000A1A8: D100001B 00926D34
	v_cmp_u_f32_e64 s[36:37], v151, v151                       // 00000000A1B0: D0480024 00032F97
	v_add3_u32 v52, v151, v55, 1                               // 00000000A1B8: D1FF0034 02066F97
	v_cndmask_b32_e64 v28, v52, v54, s[36:37]                  // 00000000A1C0: D100001C 00926D34
	v_perm_b32 v71, v28, v27, s52                              // 00000000A1C8: D1ED0047 00D2371C
	ds_write_b64 v2, v[56:57]                                  // 00000000A1D0: D89A0000 00003802
	s_mov_b32 s56, 0x208                                       // 00000000A1D8: BEB800FF 00000208
	v_add_u32_e32 v2, s56, v2                                  // 00000000A1E0: 68040438
	ds_write_b64 v2, v[58:59]                                  // 00000000A1E4: D89A0000 00003A02
	s_mov_b32 s56, 0x208                                       // 00000000A1EC: BEB800FF 00000208
	v_add_u32_e32 v2, s56, v2                                  // 00000000A1F4: 68040438
	ds_write_b64 v2, v[60:61]                                  // 00000000A1F8: D89A0000 00003C02
	s_mov_b32 s56, 0x208                                       // 00000000A200: BEB800FF 00000208
	v_add_u32_e32 v2, s56, v2                                  // 00000000A208: 68040438
	ds_write_b64 v2, v[62:63]                                  // 00000000A20C: D89A0000 00003E02
	s_mov_b32 s56, 0x208                                       // 00000000A214: BEB800FF 00000208
	v_add_u32_e32 v2, s56, v2                                  // 00000000A21C: 68040438
	ds_write_b64 v2, v[64:65]                                  // 00000000A220: D89A0000 00004002
	s_mov_b32 s56, 0x208                                       // 00000000A228: BEB800FF 00000208
	v_add_u32_e32 v2, s56, v2                                  // 00000000A230: 68040438
	ds_write_b64 v2, v[66:67]                                  // 00000000A234: D89A0000 00004202
	s_mov_b32 s56, 0x208                                       // 00000000A23C: BEB800FF 00000208
	v_add_u32_e32 v2, s56, v2                                  // 00000000A244: 68040438
	ds_write_b64 v2, v[68:69]                                  // 00000000A248: D89A0000 00004402
	s_mov_b32 s56, 0x208                                       // 00000000A250: BEB800FF 00000208
	v_add_u32_e32 v2, s56, v2                                  // 00000000A258: 68040438
	ds_write_b64 v2, v[70:71]                                  // 00000000A25C: D89A0000 00004602
	s_mov_b32 s56, 0x208                                       // 00000000A264: BEB800FF 00000208
	v_add_u32_e32 v2, s56, v2                                  // 00000000A26C: 68040438
	v_cmp_u_f32_e64 s[36:37], v152, v152                       // 00000000A270: D0480024 00033198
	v_add3_u32 v52, v152, v55, 1                               // 00000000A278: D1FF0034 02066F98
	v_cndmask_b32_e64 v27, v52, v54, s[36:37]                  // 00000000A280: D100001B 00926D34
	v_cmp_u_f32_e64 s[36:37], v153, v153                       // 00000000A288: D0480024 00033399
	v_add3_u32 v52, v153, v55, 1                               // 00000000A290: D1FF0034 02066F99
	v_cndmask_b32_e64 v28, v52, v54, s[36:37]                  // 00000000A298: D100001C 00926D34
	v_perm_b32 v56, v28, v27, s52                              // 00000000A2A0: D1ED0038 00D2371C
	v_cmp_u_f32_e64 s[36:37], v154, v154                       // 00000000A2A8: D0480024 0003359A
	v_add3_u32 v52, v154, v55, 1                               // 00000000A2B0: D1FF0034 02066F9A
	v_cndmask_b32_e64 v27, v52, v54, s[36:37]                  // 00000000A2B8: D100001B 00926D34
	v_cmp_u_f32_e64 s[36:37], v155, v155                       // 00000000A2C0: D0480024 0003379B
	v_add3_u32 v52, v155, v55, 1                               // 00000000A2C8: D1FF0034 02066F9B
	v_cndmask_b32_e64 v28, v52, v54, s[36:37]                  // 00000000A2D0: D100001C 00926D34
	v_perm_b32 v57, v28, v27, s52                              // 00000000A2D8: D1ED0039 00D2371C
	v_cmp_u_f32_e64 s[36:37], v156, v156                       // 00000000A2E0: D0480024 0003399C
	v_add3_u32 v52, v156, v55, 1                               // 00000000A2E8: D1FF0034 02066F9C
	v_cndmask_b32_e64 v27, v52, v54, s[36:37]                  // 00000000A2F0: D100001B 00926D34
	v_cmp_u_f32_e64 s[36:37], v157, v157                       // 00000000A2F8: D0480024 00033B9D
	v_add3_u32 v52, v157, v55, 1                               // 00000000A300: D1FF0034 02066F9D
	v_cndmask_b32_e64 v28, v52, v54, s[36:37]                  // 00000000A308: D100001C 00926D34
	v_perm_b32 v58, v28, v27, s52                              // 00000000A310: D1ED003A 00D2371C
	v_cmp_u_f32_e64 s[36:37], v158, v158                       // 00000000A318: D0480024 00033D9E
	v_add3_u32 v52, v158, v55, 1                               // 00000000A320: D1FF0034 02066F9E
	v_cndmask_b32_e64 v27, v52, v54, s[36:37]                  // 00000000A328: D100001B 00926D34
	v_cmp_u_f32_e64 s[36:37], v159, v159                       // 00000000A330: D0480024 00033F9F
	v_add3_u32 v52, v159, v55, 1                               // 00000000A338: D1FF0034 02066F9F
	v_cndmask_b32_e64 v28, v52, v54, s[36:37]                  // 00000000A340: D100001C 00926D34
	v_perm_b32 v59, v28, v27, s52                              // 00000000A348: D1ED003B 00D2371C
	v_cmp_u_f32_e64 s[36:37], v160, v160                       // 00000000A350: D0480024 000341A0
	v_add3_u32 v52, v160, v55, 1                               // 00000000A358: D1FF0034 02066FA0
	v_cndmask_b32_e64 v27, v52, v54, s[36:37]                  // 00000000A360: D100001B 00926D34
	v_cmp_u_f32_e64 s[36:37], v161, v161                       // 00000000A368: D0480024 000343A1
	v_add3_u32 v52, v161, v55, 1                               // 00000000A370: D1FF0034 02066FA1
	v_cndmask_b32_e64 v28, v52, v54, s[36:37]                  // 00000000A378: D100001C 00926D34
	v_perm_b32 v60, v28, v27, s52                              // 00000000A380: D1ED003C 00D2371C
	v_cmp_u_f32_e64 s[36:37], v162, v162                       // 00000000A388: D0480024 000345A2
	v_add3_u32 v52, v162, v55, 1                               // 00000000A390: D1FF0034 02066FA2
	v_cndmask_b32_e64 v27, v52, v54, s[36:37]                  // 00000000A398: D100001B 00926D34
	v_cmp_u_f32_e64 s[36:37], v163, v163                       // 00000000A3A0: D0480024 000347A3
	v_add3_u32 v52, v163, v55, 1                               // 00000000A3A8: D1FF0034 02066FA3
	v_cndmask_b32_e64 v28, v52, v54, s[36:37]                  // 00000000A3B0: D100001C 00926D34
	v_perm_b32 v61, v28, v27, s52                              // 00000000A3B8: D1ED003D 00D2371C
	v_cmp_u_f32_e64 s[36:37], v164, v164                       // 00000000A3C0: D0480024 000349A4
	v_add3_u32 v52, v164, v55, 1                               // 00000000A3C8: D1FF0034 02066FA4
	v_cndmask_b32_e64 v27, v52, v54, s[36:37]                  // 00000000A3D0: D100001B 00926D34
	v_cmp_u_f32_e64 s[36:37], v165, v165                       // 00000000A3D8: D0480024 00034BA5
	v_add3_u32 v52, v165, v55, 1                               // 00000000A3E0: D1FF0034 02066FA5
	v_cndmask_b32_e64 v28, v52, v54, s[36:37]                  // 00000000A3E8: D100001C 00926D34
	v_perm_b32 v62, v28, v27, s52                              // 00000000A3F0: D1ED003E 00D2371C
	v_cmp_u_f32_e64 s[36:37], v166, v166                       // 00000000A3F8: D0480024 00034DA6
	v_add3_u32 v52, v166, v55, 1                               // 00000000A400: D1FF0034 02066FA6
	v_cndmask_b32_e64 v27, v52, v54, s[36:37]                  // 00000000A408: D100001B 00926D34
	v_cmp_u_f32_e64 s[36:37], v167, v167                       // 00000000A410: D0480024 00034FA7
	v_add3_u32 v52, v167, v55, 1                               // 00000000A418: D1FF0034 02066FA7
	v_cndmask_b32_e64 v28, v52, v54, s[36:37]                  // 00000000A420: D100001C 00926D34
	v_perm_b32 v63, v28, v27, s52                              // 00000000A428: D1ED003F 00D2371C
	v_cmp_u_f32_e64 s[36:37], v168, v168                       // 00000000A430: D0480024 000351A8
	v_add3_u32 v52, v168, v55, 1                               // 00000000A438: D1FF0034 02066FA8
	v_cndmask_b32_e64 v27, v52, v54, s[36:37]                  // 00000000A440: D100001B 00926D34
	v_cmp_u_f32_e64 s[36:37], v169, v169                       // 00000000A448: D0480024 000353A9
	v_add3_u32 v52, v169, v55, 1                               // 00000000A450: D1FF0034 02066FA9
	v_cndmask_b32_e64 v28, v52, v54, s[36:37]                  // 00000000A458: D100001C 00926D34
	v_perm_b32 v64, v28, v27, s52                              // 00000000A460: D1ED0040 00D2371C
	v_cmp_u_f32_e64 s[36:37], v170, v170                       // 00000000A468: D0480024 000355AA
	v_add3_u32 v52, v170, v55, 1                               // 00000000A470: D1FF0034 02066FAA
	v_cndmask_b32_e64 v27, v52, v54, s[36:37]                  // 00000000A478: D100001B 00926D34
	v_cmp_u_f32_e64 s[36:37], v171, v171                       // 00000000A480: D0480024 000357AB
	v_add3_u32 v52, v171, v55, 1                               // 00000000A488: D1FF0034 02066FAB
	v_cndmask_b32_e64 v28, v52, v54, s[36:37]                  // 00000000A490: D100001C 00926D34
	v_perm_b32 v65, v28, v27, s52                              // 00000000A498: D1ED0041 00D2371C
	v_cmp_u_f32_e64 s[36:37], v172, v172                       // 00000000A4A0: D0480024 000359AC
	v_add3_u32 v52, v172, v55, 1                               // 00000000A4A8: D1FF0034 02066FAC
	v_cndmask_b32_e64 v27, v52, v54, s[36:37]                  // 00000000A4B0: D100001B 00926D34
	v_cmp_u_f32_e64 s[36:37], v173, v173                       // 00000000A4B8: D0480024 00035BAD
	v_add3_u32 v52, v173, v55, 1                               // 00000000A4C0: D1FF0034 02066FAD
	v_cndmask_b32_e64 v28, v52, v54, s[36:37]                  // 00000000A4C8: D100001C 00926D34
	v_perm_b32 v66, v28, v27, s52                              // 00000000A4D0: D1ED0042 00D2371C
	v_cmp_u_f32_e64 s[36:37], v174, v174                       // 00000000A4D8: D0480024 00035DAE
	v_add3_u32 v52, v174, v55, 1                               // 00000000A4E0: D1FF0034 02066FAE
	v_cndmask_b32_e64 v27, v52, v54, s[36:37]                  // 00000000A4E8: D100001B 00926D34
	v_cmp_u_f32_e64 s[36:37], v175, v175                       // 00000000A4F0: D0480024 00035FAF
	v_add3_u32 v52, v175, v55, 1                               // 00000000A4F8: D1FF0034 02066FAF
	v_cndmask_b32_e64 v28, v52, v54, s[36:37]                  // 00000000A500: D100001C 00926D34
	v_perm_b32 v67, v28, v27, s52                              // 00000000A508: D1ED0043 00D2371C
	v_cmp_u_f32_e64 s[36:37], v176, v176                       // 00000000A510: D0480024 000361B0
	v_add3_u32 v52, v176, v55, 1                               // 00000000A518: D1FF0034 02066FB0
	v_cndmask_b32_e64 v27, v52, v54, s[36:37]                  // 00000000A520: D100001B 00926D34
	v_cmp_u_f32_e64 s[36:37], v177, v177                       // 00000000A528: D0480024 000363B1
	v_add3_u32 v52, v177, v55, 1                               // 00000000A530: D1FF0034 02066FB1
	v_cndmask_b32_e64 v28, v52, v54, s[36:37]                  // 00000000A538: D100001C 00926D34
	v_perm_b32 v68, v28, v27, s52                              // 00000000A540: D1ED0044 00D2371C
	v_cmp_u_f32_e64 s[36:37], v178, v178                       // 00000000A548: D0480024 000365B2
	v_add3_u32 v52, v178, v55, 1                               // 00000000A550: D1FF0034 02066FB2
	v_cndmask_b32_e64 v27, v52, v54, s[36:37]                  // 00000000A558: D100001B 00926D34
	v_cmp_u_f32_e64 s[36:37], v179, v179                       // 00000000A560: D0480024 000367B3
	v_add3_u32 v52, v179, v55, 1                               // 00000000A568: D1FF0034 02066FB3
	v_cndmask_b32_e64 v28, v52, v54, s[36:37]                  // 00000000A570: D100001C 00926D34
	v_perm_b32 v69, v28, v27, s52                              // 00000000A578: D1ED0045 00D2371C
	v_cmp_u_f32_e64 s[36:37], v180, v180                       // 00000000A580: D0480024 000369B4
	v_add3_u32 v52, v180, v55, 1                               // 00000000A588: D1FF0034 02066FB4
	v_cndmask_b32_e64 v27, v52, v54, s[36:37]                  // 00000000A590: D100001B 00926D34
	v_cmp_u_f32_e64 s[36:37], v181, v181                       // 00000000A598: D0480024 00036BB5
	v_add3_u32 v52, v181, v55, 1                               // 00000000A5A0: D1FF0034 02066FB5
	v_cndmask_b32_e64 v28, v52, v54, s[36:37]                  // 00000000A5A8: D100001C 00926D34
	v_perm_b32 v70, v28, v27, s52                              // 00000000A5B0: D1ED0046 00D2371C
	v_cmp_u_f32_e64 s[36:37], v182, v182                       // 00000000A5B8: D0480024 00036DB6
	v_add3_u32 v52, v182, v55, 1                               // 00000000A5C0: D1FF0034 02066FB6
	v_cndmask_b32_e64 v27, v52, v54, s[36:37]                  // 00000000A5C8: D100001B 00926D34
	v_cmp_u_f32_e64 s[36:37], v183, v183                       // 00000000A5D0: D0480024 00036FB7
	v_add3_u32 v52, v183, v55, 1                               // 00000000A5D8: D1FF0034 02066FB7
	v_cndmask_b32_e64 v28, v52, v54, s[36:37]                  // 00000000A5E0: D100001C 00926D34
	v_perm_b32 v71, v28, v27, s52                              // 00000000A5E8: D1ED0047 00D2371C
	ds_write_b64 v2, v[56:57]                                  // 00000000A5F0: D89A0000 00003802
	s_mov_b32 s56, 0x208                                       // 00000000A5F8: BEB800FF 00000208
	v_add_u32_e32 v2, s56, v2                                  // 00000000A600: 68040438
	ds_write_b64 v2, v[58:59]                                  // 00000000A604: D89A0000 00003A02
	s_mov_b32 s56, 0x208                                       // 00000000A60C: BEB800FF 00000208
	v_add_u32_e32 v2, s56, v2                                  // 00000000A614: 68040438
	ds_write_b64 v2, v[60:61]                                  // 00000000A618: D89A0000 00003C02
	s_mov_b32 s56, 0x208                                       // 00000000A620: BEB800FF 00000208
	v_add_u32_e32 v2, s56, v2                                  // 00000000A628: 68040438
	ds_write_b64 v2, v[62:63]                                  // 00000000A62C: D89A0000 00003E02
	s_mov_b32 s56, 0x208                                       // 00000000A634: BEB800FF 00000208
	v_add_u32_e32 v2, s56, v2                                  // 00000000A63C: 68040438
	ds_write_b64 v2, v[64:65]                                  // 00000000A640: D89A0000 00004002
	s_mov_b32 s56, 0x208                                       // 00000000A648: BEB800FF 00000208
	v_add_u32_e32 v2, s56, v2                                  // 00000000A650: 68040438
	ds_write_b64 v2, v[66:67]                                  // 00000000A654: D89A0000 00004202
	s_mov_b32 s56, 0x208                                       // 00000000A65C: BEB800FF 00000208
	v_add_u32_e32 v2, s56, v2                                  // 00000000A664: 68040438
	ds_write_b64 v2, v[68:69]                                  // 00000000A668: D89A0000 00004402
	s_mov_b32 s56, 0x208                                       // 00000000A670: BEB800FF 00000208
	v_add_u32_e32 v2, s56, v2                                  // 00000000A678: 68040438
	ds_write_b64 v2, v[70:71]                                  // 00000000A67C: D89A0000 00004602
	s_mov_b32 s56, 0x208                                       // 00000000A684: BEB800FF 00000208
	v_add_u32_e32 v2, s56, v2                                  // 00000000A68C: 68040438
	v_and_b32_e32 v27, 31, v0                                  // 00000000A690: 2636009F
	s_mov_b32 s56, 0x208                                       // 00000000A694: BEB800FF 00000208
	v_mul_i32_i24_e32 v27, s56, v27                            // 00000000A69C: 0C363638
	v_lshrrev_b32_e32 v28, 5, v0                               // 00000000A6A0: 20380085
	s_mov_b32 s56, 8                                           // 00000000A6A4: BEB80088
	v_mul_i32_i24_e32 v28, s56, v28                            // 00000000A6A8: 0C383838
	v_add_u32_e32 v2, v27, v28                                 // 00000000A6AC: 6804391B
	s_mov_b32 s56, 0x100                                       // 00000000A6B0: BEB800FF 00000100
	v_add_u32_e32 v3, s56, v2                                  // 00000000A6B8: 68060438
	s_mov_b32 s57, 0x5000                                      // 00000000A6BC: BEB900FF 00005000
	s_mul_i32 s56, s57, s7                                     // 00000000A6C4: 92380739
	v_add_u32_e32 v2, s56, v2                                  // 00000000A6C8: 68040438
	v_add_u32_e32 v3, s56, v3                                  // 00000000A6CC: 68060638
	s_lshr_b32 s56, s7, 1                                      // 00000000A6D0: 8F388107
	s_mov_b32 s57, 0x8000                                      // 00000000A6D4: BEB900FF 00008000
	s_mul_i32 s56, s56, s57                                    // 00000000A6DC: 92383938
	s_and_b32 s57, 1, s7                                       // 00000000A6E0: 86390781
	s_lshl_b32 s57, s57, 9                                     // 00000000A6E4: 8E398939
	s_add_i32 s56, s56, s57                                    // 00000000A6E8: 81383938
	v_and_b32_e32 v5, 31, v0                                   // 00000000A6EC: 260A009F
	v_lshlrev_b32_e32 v5, 4, v5                                // 00000000A6F0: 240A0A84
	v_add_u32_e32 v5, s56, v5                                  // 00000000A6F4: 680A0A38
	v_lshrrev_b32_e32 v27, 5, v0                               // 00000000A6F8: 20360085
	v_lshlrev_b32_e32 v27, 10, v27                             // 00000000A6FC: 2436368A
	v_add_u32_e32 v5, v27, v5                                  // 00000000A700: 680A0B1B
	s_waitcnt lgkmcnt(0)                                       // 00000000A704: BF8CC07F
	ds_read_b64 v[56:57], v2                                   // 00000000A708: D8EC0000 38000002
	ds_read_b64 v[58:59], v3                                   // 00000000A710: D8EC0000 3A000003
	ds_read_b64 v[60:61], v2 offset:16                         // 00000000A718: D8EC0010 3C000002
	ds_read_b64 v[62:63], v3 offset:16                         // 00000000A720: D8EC0010 3E000003
	s_waitcnt lgkmcnt(2)                                       // 00000000A728: BF8CC27F
	buffer_store_dwordx4 v[56:59], v5, s[88:91], 0 offen       // 00000000A72C: E07C1000 80163805
	v_add_u32_e32 v5, 0x800, v5                                // 00000000A734: 680A0AFF 00000800
	ds_read_b64 v[64:65], v2 offset:32                         // 00000000A73C: D8EC0020 40000002
	ds_read_b64 v[66:67], v3 offset:32                         // 00000000A744: D8EC0020 42000003
	s_waitcnt lgkmcnt(2)                                       // 00000000A74C: BF8CC27F
	buffer_store_dwordx4 v[60:63], v5, s[88:91], 0 offen       // 00000000A750: E07C1000 80163C05
	v_add_u32_e32 v5, 0x800, v5                                // 00000000A758: 680A0AFF 00000800
	ds_read_b64 v[68:69], v2 offset:48                         // 00000000A760: D8EC0030 44000002
	ds_read_b64 v[70:71], v3 offset:48                         // 00000000A768: D8EC0030 46000003
	s_waitcnt lgkmcnt(2)                                       // 00000000A770: BF8CC27F
	buffer_store_dwordx4 v[64:67], v5, s[88:91], 0 offen       // 00000000A774: E07C1000 80164005
	v_add_u32_e32 v5, 0x800, v5                                // 00000000A77C: 680A0AFF 00000800
	s_waitcnt lgkmcnt(0)                                       // 00000000A784: BF8CC07F
	buffer_store_dwordx4 v[68:71], v5, s[88:91], 0 offen       // 00000000A788: E07C1000 80164405
	v_add_u32_e32 v5, 0x800, v5                                // 00000000A790: 680A0AFF 00000800
	ds_read_b64 v[72:73], v2 offset:64                         // 00000000A798: D8EC0040 48000002
	ds_read_b64 v[74:75], v3 offset:64                         // 00000000A7A0: D8EC0040 4A000003
	ds_read_b64 v[76:77], v2 offset:80                         // 00000000A7A8: D8EC0050 4C000002
	ds_read_b64 v[78:79], v3 offset:80                         // 00000000A7B0: D8EC0050 4E000003
	s_waitcnt lgkmcnt(2)                                       // 00000000A7B8: BF8CC27F
	buffer_store_dwordx4 v[72:75], v5, s[88:91], 0 offen       // 00000000A7BC: E07C1000 80164805
	v_add_u32_e32 v5, 0x800, v5                                // 00000000A7C4: 680A0AFF 00000800
	ds_read_b64 v[80:81], v2 offset:96                         // 00000000A7CC: D8EC0060 50000002
	ds_read_b64 v[82:83], v3 offset:96                         // 00000000A7D4: D8EC0060 52000003
	s_waitcnt lgkmcnt(2)                                       // 00000000A7DC: BF8CC27F
	buffer_store_dwordx4 v[76:79], v5, s[88:91], 0 offen       // 00000000A7E0: E07C1000 80164C05
	v_add_u32_e32 v5, 0x800, v5                                // 00000000A7E8: 680A0AFF 00000800
	ds_read_b64 v[84:85], v2 offset:112                        // 00000000A7F0: D8EC0070 54000002
	ds_read_b64 v[86:87], v3 offset:112                        // 00000000A7F8: D8EC0070 56000003
	s_waitcnt lgkmcnt(2)                                       // 00000000A800: BF8CC27F
	buffer_store_dwordx4 v[80:83], v5, s[88:91], 0 offen       // 00000000A804: E07C1000 80165005
	v_add_u32_e32 v5, 0x800, v5                                // 00000000A80C: 680A0AFF 00000800
	s_waitcnt lgkmcnt(0)                                       // 00000000A814: BF8CC07F
	buffer_store_dwordx4 v[84:87], v5, s[88:91], 0 offen       // 00000000A818: E07C1000 80165405
	v_add_u32_e32 v5, 0x800, v5                                // 00000000A820: 680A0AFF 00000800
	ds_read_b64 v[88:89], v2 offset:128                        // 00000000A828: D8EC0080 58000002
	ds_read_b64 v[90:91], v3 offset:128                        // 00000000A830: D8EC0080 5A000003
	ds_read_b64 v[92:93], v2 offset:144                        // 00000000A838: D8EC0090 5C000002
	ds_read_b64 v[94:95], v3 offset:144                        // 00000000A840: D8EC0090 5E000003
	s_waitcnt lgkmcnt(2)                                       // 00000000A848: BF8CC27F
	buffer_store_dwordx4 v[88:91], v5, s[88:91], 0 offen       // 00000000A84C: E07C1000 80165805
	v_add_u32_e32 v5, 0x800, v5                                // 00000000A854: 680A0AFF 00000800
	ds_read_b64 v[96:97], v2 offset:160                        // 00000000A85C: D8EC00A0 60000002
	ds_read_b64 v[98:99], v3 offset:160                        // 00000000A864: D8EC00A0 62000003
	s_waitcnt lgkmcnt(2)                                       // 00000000A86C: BF8CC27F
	buffer_store_dwordx4 v[92:95], v5, s[88:91], 0 offen       // 00000000A870: E07C1000 80165C05
	v_add_u32_e32 v5, 0x800, v5                                // 00000000A878: 680A0AFF 00000800
	ds_read_b64 v[100:101], v2 offset:176                      // 00000000A880: D8EC00B0 64000002
	ds_read_b64 v[102:103], v3 offset:176                      // 00000000A888: D8EC00B0 66000003
	s_waitcnt lgkmcnt(2)                                       // 00000000A890: BF8CC27F
	buffer_store_dwordx4 v[96:99], v5, s[88:91], 0 offen       // 00000000A894: E07C1000 80166005
	v_add_u32_e32 v5, 0x800, v5                                // 00000000A89C: 680A0AFF 00000800
	s_waitcnt lgkmcnt(0)                                       // 00000000A8A4: BF8CC07F
	buffer_store_dwordx4 v[100:103], v5, s[88:91], 0 offen     // 00000000A8A8: E07C1000 80166405
	v_add_u32_e32 v5, 0x800, v5                                // 00000000A8B0: 680A0AFF 00000800
	ds_read_b64 v[104:105], v2 offset:192                      // 00000000A8B8: D8EC00C0 68000002
	ds_read_b64 v[106:107], v3 offset:192                      // 00000000A8C0: D8EC00C0 6A000003
	ds_read_b64 v[108:109], v2 offset:208                      // 00000000A8C8: D8EC00D0 6C000002
	ds_read_b64 v[110:111], v3 offset:208                      // 00000000A8D0: D8EC00D0 6E000003
	s_waitcnt lgkmcnt(2)                                       // 00000000A8D8: BF8CC27F
	buffer_store_dwordx4 v[104:107], v5, s[88:91], 0 offen     // 00000000A8DC: E07C1000 80166805
	v_add_u32_e32 v5, 0x800, v5                                // 00000000A8E4: 680A0AFF 00000800
	ds_read_b64 v[112:113], v2 offset:224                      // 00000000A8EC: D8EC00E0 70000002
	ds_read_b64 v[114:115], v3 offset:224                      // 00000000A8F4: D8EC00E0 72000003
	s_waitcnt lgkmcnt(2)                                       // 00000000A8FC: BF8CC27F
	buffer_store_dwordx4 v[108:111], v5, s[88:91], 0 offen     // 00000000A900: E07C1000 80166C05
	v_add_u32_e32 v5, 0x800, v5                                // 00000000A908: 680A0AFF 00000800
	ds_read_b64 v[116:117], v2 offset:240                      // 00000000A910: D8EC00F0 74000002
	ds_read_b64 v[118:119], v3 offset:240                      // 00000000A918: D8EC00F0 76000003
	s_waitcnt lgkmcnt(2)                                       // 00000000A920: BF8CC27F
	buffer_store_dwordx4 v[112:115], v5, s[88:91], 0 offen     // 00000000A924: E07C1000 80167005
	v_add_u32_e32 v5, 0x800, v5                                // 00000000A92C: 680A0AFF 00000800
	s_waitcnt lgkmcnt(0)                                       // 00000000A934: BF8CC07F
	buffer_store_dwordx4 v[116:119], v5, s[88:91], 0 offen     // 00000000A938: E07C1000 80167405
	v_add_u32_e32 v5, 0x800, v5                                // 00000000A940: 680A0AFF 00000800

000000000000a948 <label_8750>:
	s_mov_b32 s56, 32                                          // 00000000A948: BEB800A0
	s_addk_i32 s85, 0x1                                        // 00000000A94C: B7550001
	s_cmp_lt_i32 s85, s86                                      // 00000000A950: BF045655
	s_cbranch_scc1 label_00A4                                  // 00000000A954: BF85DED3

000000000000a958 <label_8760>:
	s_waitcnt vmcnt(0) expcnt(0) lgkmcnt(0)                    // 00000000A958: BF8C0000
	s_endpgm                                                   // 00000000A95C: BF810000
